;; amdgpu-corpus repo=ROCm/rocFFT kind=compiled arch=gfx1201 opt=O3
	.text
	.amdgcn_target "amdgcn-amd-amdhsa--gfx1201"
	.amdhsa_code_object_version 6
	.protected	bluestein_single_fwd_len2700_dim1_sp_op_CI_CI ; -- Begin function bluestein_single_fwd_len2700_dim1_sp_op_CI_CI
	.globl	bluestein_single_fwd_len2700_dim1_sp_op_CI_CI
	.p2align	8
	.type	bluestein_single_fwd_len2700_dim1_sp_op_CI_CI,@function
bluestein_single_fwd_len2700_dim1_sp_op_CI_CI: ; @bluestein_single_fwd_len2700_dim1_sp_op_CI_CI
; %bb.0:
	s_load_b128 s[12:15], s[0:1], 0x28
	v_mul_u32_u24_e32 v1, 0x2d9, v0
	s_mov_b32 s2, exec_lo
	v_mov_b32_e32 v3, 0
	s_delay_alu instid0(VALU_DEP_2) | instskip(NEXT) | instid1(VALU_DEP_1)
	v_lshrrev_b32_e32 v1, 16, v1
	v_add_nc_u32_e32 v2, ttmp9, v1
	s_wait_kmcnt 0x0
	s_delay_alu instid0(VALU_DEP_1)
	v_cmpx_gt_u64_e64 s[12:13], v[2:3]
	s_cbranch_execz .LBB0_2
; %bb.1:
	s_clause 0x1
	s_load_b128 s[4:7], s[0:1], 0x18
	s_load_b128 s[8:11], s[0:1], 0x0
	v_mul_lo_u16 v1, 0x5a, v1
	s_movk_i32 s2, 0xca90
	s_mov_b32 s3, -1
	s_load_b64 s[0:1], s[0:1], 0x38
	v_mov_b32_e32 v4, v2
	v_sub_nc_u16 v181, v0, v1
	scratch_store_b64 off, v[4:5], off      ; 8-byte Folded Spill
	v_and_b32_e32 v7, 0xffff, v181
	s_wait_kmcnt 0x0
	s_load_b128 s[16:19], s[4:5], 0x0
	s_wait_kmcnt 0x0
	v_mad_co_u64_u32 v[0:1], null, s18, v2, 0
	v_mad_co_u64_u32 v[2:3], null, s16, v7, 0
	s_mul_u64 s[4:5], s[16:17], 0x1c20
	s_mul_u64 s[12:13], s[16:17], s[2:3]
	s_delay_alu instid0(VALU_DEP_1) | instskip(NEXT) | instid1(VALU_DEP_1)
	v_mad_co_u64_u32 v[4:5], null, s19, v4, v[1:2]
	v_dual_mov_b32 v88, v7 :: v_dual_mov_b32 v1, v4
	s_delay_alu instid0(VALU_DEP_3) | instskip(NEXT) | instid1(VALU_DEP_2)
	v_mad_co_u64_u32 v[5:6], null, s17, v7, v[3:4]
	v_add_co_u32 v188, null, 0x2d0, v88
	s_delay_alu instid0(VALU_DEP_3)
	v_lshlrev_b64_e32 v[0:1], 3, v[0:1]
	v_lshlrev_b32_e32 v250, 3, v88
	v_add_co_u32 v190, null, 0x32a, v88
	v_mov_b32_e32 v3, v5
	v_mov_b32_e32 v209, v88
	v_add_co_u32 v0, vcc_lo, s14, v0
	v_add_co_ci_u32_e32 v1, vcc_lo, s15, v1, vcc_lo
	s_delay_alu instid0(VALU_DEP_4)
	v_lshlrev_b64_e32 v[2:3], 3, v[2:3]
	v_add_nc_u32_e32 v242, 0x1000, v250
	v_add_nc_u32_e32 v196, 0x1800, v250
	;; [unrolled: 1-line block ×5, first 2 shown]
	v_add_co_u32 v0, vcc_lo, v0, v2
	s_wait_alu 0xfffd
	v_add_co_ci_u32_e32 v1, vcc_lo, v1, v3, vcc_lo
	v_add_nc_u32_e32 v193, 0x1c2, v88
	s_delay_alu instid0(VALU_DEP_3) | instskip(SKIP_1) | instid1(VALU_DEP_3)
	v_add_co_u32 v4, vcc_lo, v0, s4
	s_wait_alu 0xfffd
	v_add_co_ci_u32_e32 v5, vcc_lo, s5, v1, vcc_lo
	s_clause 0x1
	global_load_b64 v[24:25], v250, s[8:9]
	global_load_b64 v[20:21], v250, s[8:9] offset:7200
	s_clause 0x1
	global_load_b64 v[2:3], v[0:1], off
	global_load_b64 v[0:1], v[4:5], off
	v_add_co_u32 v4, vcc_lo, v4, s4
	s_wait_alu 0xfffd
	v_add_co_ci_u32_e32 v5, vcc_lo, s5, v5, vcc_lo
	global_load_b64 v[15:16], v250, s[8:9] offset:14400
	s_wait_alu 0xfffe
	v_add_co_u32 v8, vcc_lo, v4, s12
	global_load_b64 v[6:7], v[4:5], off
	s_wait_alu 0xfffd
	v_add_co_ci_u32_e32 v9, vcc_lo, s13, v5, vcc_lo
	global_load_b64 v[22:23], v250, s[8:9] offset:720
	global_load_b64 v[4:5], v[8:9], off
	s_clause 0x2
	global_load_b64 v[18:19], v250, s[8:9] offset:7920
	global_load_b64 v[30:31], v250, s[8:9] offset:1440
	;; [unrolled: 1-line block ×3, first 2 shown]
	v_add_co_u32 v8, vcc_lo, v8, s4
	s_wait_alu 0xfffd
	v_add_co_ci_u32_e32 v9, vcc_lo, s5, v9, vcc_lo
	global_load_b64 v[26:27], v250, s[8:9] offset:6480
	v_add_co_u32 v10, vcc_lo, v8, s4
	s_wait_alu 0xfffd
	v_add_co_ci_u32_e32 v11, vcc_lo, s5, v9, vcc_lo
	global_load_b64 v[8:9], v[8:9], off
	s_wait_loadcnt 0xc
	scratch_store_b64 off, v[24:25], off offset:240 ; 8-byte Folded Spill
	s_wait_loadcnt 0xb
	scratch_store_b64 off, v[20:21], off offset:224 ; 8-byte Folded Spill
	s_wait_loadcnt 0xa
	v_mul_f32_e32 v12, v3, v25
	s_wait_loadcnt 0x9
	v_mul_f32_e32 v14, v0, v21
	s_clause 0x2
	global_load_b64 v[36:37], v250, s[8:9] offset:15120
	global_load_b64 v[34:35], v250, s[8:9] offset:15840
	;; [unrolled: 1-line block ×3, first 2 shown]
	s_wait_loadcnt 0xb
	v_mov_b32_e32 v17, v16
	v_dual_mul_f32 v13, v2, v25 :: v_dual_mov_b32 v16, v15
	v_fmac_f32_e32 v12, v2, v24
	v_mul_f32_e32 v2, v1, v21
	s_delay_alu instid0(VALU_DEP_3)
	v_fma_f32 v13, v3, v24, -v13
	v_fma_f32 v3, v1, v20, -v14
	s_wait_loadcnt 0xa
	v_mul_f32_e32 v14, v7, v17
	v_dual_mul_f32 v1, v6, v17 :: v_dual_fmac_f32 v2, v0, v20
	s_wait_loadcnt 0x8
	v_mul_f32_e32 v0, v5, v23
	global_load_b64 v[20:21], v250, s[8:9] offset:8640
	v_fmac_f32_e32 v14, v6, v16
	v_add_co_u32 v6, vcc_lo, v10, s12
	v_fma_f32 v15, v7, v16, -v1
	v_mul_f32_e32 v1, v4, v23
	s_wait_alu 0xfffd
	v_add_co_ci_u32_e32 v7, vcc_lo, s13, v11, vcc_lo
	v_fmac_f32_e32 v0, v4, v22
	v_add_co_u32 v4, vcc_lo, v6, s4
	v_fma_f32 v1, v5, v22, -v1
	s_wait_alu 0xfffd
	v_add_co_ci_u32_e32 v5, vcc_lo, s5, v7, vcc_lo
	ds_store_b64 v250, v[2:3] offset:7200
	ds_store_b64 v250, v[14:15] offset:14400
	ds_store_2addr_b64 v250, v[12:13], v[0:1] offset1:90
	global_load_b64 v[2:3], v[4:5], off
	s_wait_loadcnt 0x5
	v_mul_f32_e32 v0, v9, v19
	v_mul_f32_e32 v14, v8, v19
	s_clause 0x2
	scratch_store_b64 off, v[16:17], off offset:192
	scratch_store_b64 off, v[18:19], off offset:216
	scratch_store_b64 off, v[22:23], off offset:232
	v_fmac_f32_e32 v0, v8, v18
	v_fma_f32 v1, v9, v18, -v14
	s_clause 0x2
	global_load_b64 v[16:17], v250, s[8:9] offset:9360
	global_load_b64 v[14:15], v250, s[8:9] offset:10080
	;; [unrolled: 1-line block ×3, first 2 shown]
	s_clause 0x1
	scratch_store_b64 off, v[30:31], off offset:208
	scratch_store_b64 off, v[28:29], off offset:184
	s_wait_loadcnt 0x7
	scratch_store_b64 off, v[36:37], off offset:200 ; 8-byte Folded Spill
	s_wait_loadcnt 0x6
	scratch_store_b64 off, v[34:35], off offset:144 ; 8-byte Folded Spill
	s_wait_loadcnt 0x5
	scratch_store_b64 off, v[32:33], off offset:160 ; 8-byte Folded Spill
	s_wait_loadcnt 0x4
	scratch_store_b64 off, v[20:21], off offset:152 ; 8-byte Folded Spill
	s_wait_loadcnt 0x3
	v_mul_f32_e32 v8, v2, v21
	s_delay_alu instid0(VALU_DEP_1)
	v_fma_f32 v9, v3, v20, -v8
	v_mul_f32_e32 v8, v3, v21
	s_wait_loadcnt 0x2
	scratch_store_b64 off, v[16:17], off offset:176 ; 8-byte Folded Spill
	s_wait_loadcnt 0x1
	scratch_store_b64 off, v[14:15], off offset:96 ; 8-byte Folded Spill
	v_fmac_f32_e32 v8, v2, v20
	v_add_nc_u32_e32 v2, 0x1c00, v250
	ds_store_2addr_b64 v2, v[0:1], v[8:9] offset0:94 offset1:184
	global_load_b64 v[0:1], v[10:11], off
	v_mov_b32_e32 v216, v2
	v_add_co_u32 v2, vcc_lo, v4, s4
	s_wait_alu 0xfffd
	v_add_co_ci_u32_e32 v3, vcc_lo, s5, v5, vcc_lo
	s_wait_loadcnt 0x0
	v_mul_f32_e32 v4, v0, v37
	s_delay_alu instid0(VALU_DEP_1) | instskip(SKIP_1) | instid1(VALU_DEP_1)
	v_fma_f32 v5, v1, v36, -v4
	v_mul_f32_e32 v4, v1, v37
	v_fmac_f32_e32 v4, v0, v36
	global_load_b64 v[0:1], v[2:3], off
	v_add_co_u32 v2, vcc_lo, v2, s12
	s_wait_alu 0xfffd
	v_add_co_ci_u32_e32 v3, vcc_lo, s13, v3, vcc_lo
	s_wait_loadcnt 0x0
	v_mul_f32_e32 v8, v0, v35
	s_delay_alu instid0(VALU_DEP_1) | instskip(SKIP_1) | instid1(VALU_DEP_1)
	v_fma_f32 v9, v1, v34, -v8
	v_mul_f32_e32 v8, v1, v35
	v_fmac_f32_e32 v8, v0, v34
	v_add_nc_u32_e32 v0, 0x3800, v250
	ds_store_2addr_b64 v0, v[4:5], v[8:9] offset0:98 offset1:188
	v_mov_b32_e32 v25, v0
	global_load_b64 v[0:1], v[6:7], off
	v_mov_b32_e32 v214, v25
	s_wait_loadcnt 0x0
	v_mul_f32_e32 v4, v1, v31
	v_mul_f32_e32 v5, v0, v31
	s_delay_alu instid0(VALU_DEP_2) | instskip(SKIP_1) | instid1(VALU_DEP_3)
	v_fmac_f32_e32 v4, v0, v30
	v_add_co_u32 v0, vcc_lo, v2, s4
	v_fma_f32 v5, v1, v30, -v5
	s_wait_alu 0xfffd
	v_add_co_ci_u32_e32 v1, vcc_lo, s5, v3, vcc_lo
	global_load_b64 v[2:3], v[2:3], off
	s_wait_loadcnt 0x0
	v_mul_f32_e32 v6, v2, v29
	s_delay_alu instid0(VALU_DEP_1) | instskip(SKIP_1) | instid1(VALU_DEP_1)
	v_fma_f32 v7, v3, v28, -v6
	v_mul_f32_e32 v6, v3, v29
	v_fmac_f32_e32 v6, v2, v28
	v_add_nc_u32_e32 v2, 0x400, v250
	ds_store_2addr_b64 v2, v[4:5], v[6:7] offset0:52 offset1:142
	v_mov_b32_e32 v207, v2
	global_load_b64 v[2:3], v[0:1], off
	v_add_co_u32 v0, vcc_lo, v0, s4
	s_wait_alu 0xfffd
	v_add_co_ci_u32_e32 v1, vcc_lo, s5, v1, vcc_lo
	s_delay_alu instid0(VALU_DEP_2) | instskip(SKIP_1) | instid1(VALU_DEP_2)
	v_add_co_u32 v5, vcc_lo, v0, s12
	s_wait_alu 0xfffd
	v_add_co_ci_u32_e32 v6, vcc_lo, s13, v1, vcc_lo
	global_load_b64 v[0:1], v[0:1], off
	v_add_co_u32 v7, vcc_lo, v5, s4
	s_wait_alu 0xfffd
	v_add_co_ci_u32_e32 v8, vcc_lo, s5, v6, vcc_lo
	global_load_b64 v[9:10], v[7:8], off
	s_wait_loadcnt 0x2
	v_mul_f32_e32 v4, v2, v17
	s_delay_alu instid0(VALU_DEP_1) | instskip(SKIP_2) | instid1(VALU_DEP_1)
	v_fma_f32 v4, v3, v16, -v4
	v_mul_f32_e32 v3, v3, v17
	s_wait_loadcnt 0x0
	v_dual_fmac_f32 v3, v2, v16 :: v_dual_mul_f32 v2, v9, v15
	s_delay_alu instid0(VALU_DEP_1) | instskip(SKIP_2) | instid1(VALU_DEP_2)
	v_fma_f32 v11, v10, v14, -v2
	v_mul_f32_e32 v10, v10, v15
	v_add_nc_u32_e32 v2, 0x2000, v250
	v_fmac_f32_e32 v10, v9, v14
	s_delay_alu instid0(VALU_DEP_2)
	v_mov_b32_e32 v210, v2
	ds_store_2addr_b64 v2, v[3:4], v[10:11] offset0:146 offset1:236
	v_add_co_u32 v2, vcc_lo, v7, s4
	s_wait_alu 0xfffd
	v_add_co_ci_u32_e32 v3, vcc_lo, s5, v8, vcc_lo
	v_mul_f32_e32 v4, v0, v33
	v_mul_f32_e32 v7, v1, v33
	s_delay_alu instid0(VALU_DEP_2) | instskip(NEXT) | instid1(VALU_DEP_2)
	v_fma_f32 v8, v1, v32, -v4
	v_fmac_f32_e32 v7, v0, v32
	global_load_b64 v[0:1], v[2:3], off
	global_load_b64 v[19:20], v250, s[8:9] offset:17280
	s_wait_loadcnt 0x0
	v_mul_f32_e32 v4, v0, v20
	v_mul_f32_e32 v9, v1, v20
	scratch_store_b64 off, v[19:20], off offset:104 ; 8-byte Folded Spill
	s_clause 0x2
	global_load_b64 v[28:29], v250, s[8:9] offset:18000
	global_load_b64 v[17:18], v250, s[8:9] offset:18720
	;; [unrolled: 1-line block ×3, first 2 shown]
	v_fma_f32 v10, v1, v19, -v4
	v_dual_fmac_f32 v9, v0, v19 :: v_dual_add_nc_u32 v0, 0x4000, v250
	ds_store_2addr_b64 v0, v[7:8], v[9:10] offset0:22 offset1:112
	v_mov_b32_e32 v211, v0
	v_add_co_u32 v0, vcc_lo, v2, s12
	s_wait_alu 0xfffd
	v_add_co_ci_u32_e32 v1, vcc_lo, s13, v3, vcc_lo
	global_load_b64 v[2:3], v[5:6], off
	s_clause 0x1
	global_load_b64 v[5:6], v250, s[8:9] offset:2880
	global_load_b64 v[8:9], v250, s[8:9] offset:3600
	s_wait_loadcnt 0x1
	v_mul_f32_e32 v4, v2, v6
	scratch_store_b64 off, v[5:6], off offset:168 ; 8-byte Folded Spill
	s_wait_loadcnt 0x0
	scratch_store_b64 off, v[8:9], off offset:120 ; 8-byte Folded Spill
	s_clause 0x1
	global_load_b64 v[30:31], v250, s[8:9] offset:4320
	global_load_b64 v[21:22], v250, s[8:9] offset:5040
	scratch_store_b64 off, v[12:13], off offset:112 ; 8-byte Folded Spill
	v_fma_f32 v4, v3, v5, -v4
	v_mul_f32_e32 v3, v3, v6
	s_delay_alu instid0(VALU_DEP_1)
	v_fmac_f32_e32 v3, v2, v5
	global_load_b64 v[5:6], v[0:1], off
	v_add_co_u32 v0, vcc_lo, v0, s4
	s_wait_alu 0xfffd
	v_add_co_ci_u32_e32 v1, vcc_lo, s5, v1, vcc_lo
	s_wait_loadcnt 0x0
	v_mul_f32_e32 v2, v5, v9
	s_delay_alu instid0(VALU_DEP_1) | instskip(SKIP_2) | instid1(VALU_DEP_2)
	v_fma_f32 v7, v6, v8, -v2
	v_mul_f32_e32 v6, v6, v9
	v_add_nc_u32_e32 v2, 0x800, v250
	v_fmac_f32_e32 v6, v5, v8
	s_delay_alu instid0(VALU_DEP_2)
	v_mov_b32_e32 v184, v2
	ds_store_2addr_b64 v2, v[3:4], v[6:7] offset0:104 offset1:194
	v_add_co_u32 v2, vcc_lo, v0, s4
	s_wait_alu 0xfffd
	v_add_co_ci_u32_e32 v3, vcc_lo, s5, v1, vcc_lo
	global_load_b64 v[0:1], v[0:1], off
	s_wait_loadcnt 0x0
	v_mul_f32_e32 v4, v0, v13
	s_delay_alu instid0(VALU_DEP_1) | instskip(SKIP_1) | instid1(VALU_DEP_1)
	v_fma_f32 v5, v1, v12, -v4
	v_mul_f32_e32 v4, v1, v13
	v_fmac_f32_e32 v4, v0, v12
	v_add_co_u32 v0, vcc_lo, v2, s12
	s_wait_alu 0xfffd
	v_add_co_ci_u32_e32 v1, vcc_lo, s13, v3, vcc_lo
	s_delay_alu instid0(VALU_DEP_2) | instskip(SKIP_1) | instid1(VALU_DEP_2)
	v_add_co_u32 v6, vcc_lo, v0, s4
	s_wait_alu 0xfffd
	v_add_co_ci_u32_e32 v7, vcc_lo, s5, v1, vcc_lo
	global_load_b64 v[8:9], v[6:7], off
	global_load_b64 v[23:24], v250, s[8:9] offset:11520
	s_wait_loadcnt 0x0
	scratch_store_b64 off, v[23:24], off offset:64 ; 8-byte Folded Spill
	s_clause 0x2
	global_load_b64 v[19:20], v250, s[8:9] offset:12240
	global_load_b64 v[11:12], v250, s[8:9] offset:12960
	global_load_b64 v[13:14], v250, s[8:9] offset:13680
	global_load_b64 v[2:3], v[2:3], off
	v_mul_f32_e32 v10, v8, v24
	global_load_b64 v[0:1], v[0:1], off
	s_clause 0x2
	scratch_store_b64 off, v[28:29], off offset:136
	scratch_store_b64 off, v[30:31], off offset:128
	;; [unrolled: 1-line block ×3, first 2 shown]
	v_fma_f32 v10, v9, v23, -v10
	v_mul_f32_e32 v9, v9, v24
	s_clause 0x1
	scratch_store_b64 off, v[17:18], off offset:40
	scratch_store_b64 off, v[15:16], off offset:56
	v_dual_fmac_f32 v9, v8, v23 :: v_dual_add_nc_u32 v8, 0x2800, v250
	ds_store_2addr_b64 v8, v[4:5], v[9:10] offset0:70 offset1:160
	v_add_co_u32 v4, vcc_lo, v6, s4
	s_wait_alu 0xfffd
	v_add_co_ci_u32_e32 v5, vcc_lo, s5, v7, vcc_lo
	v_mov_b32_e32 v212, v8
	s_wait_loadcnt 0x4
	scratch_store_b64 off, v[19:20], off offset:80 ; 8-byte Folded Spill
	s_wait_loadcnt 0x3
	scratch_store_b64 off, v[11:12], off offset:8 ; 8-byte Folded Spill
	s_wait_loadcnt 0x1
	v_mul_f32_e32 v6, v2, v29
	s_delay_alu instid0(VALU_DEP_1) | instskip(SKIP_1) | instid1(VALU_DEP_1)
	v_fma_f32 v7, v3, v28, -v6
	v_mul_f32_e32 v6, v3, v29
	v_fmac_f32_e32 v6, v2, v28
	global_load_b64 v[2:3], v[4:5], off
	s_wait_loadcnt 0x0
	v_mul_f32_e32 v8, v2, v18
	s_delay_alu instid0(VALU_DEP_1) | instskip(SKIP_1) | instid1(VALU_DEP_1)
	v_fma_f32 v9, v3, v17, -v8
	v_mul_f32_e32 v8, v3, v18
	v_fmac_f32_e32 v8, v2, v17
	v_add_nc_u32_e32 v2, 0x4400, v250
	ds_store_2addr_b64 v2, v[6:7], v[8:9] offset0:74 offset1:164
	v_add_co_u32 v2, vcc_lo, v4, s12
	v_mul_f32_e32 v4, v0, v31
	s_wait_alu 0xfffd
	v_add_co_ci_u32_e32 v3, vcc_lo, s13, v5, vcc_lo
	s_delay_alu instid0(VALU_DEP_2) | instskip(SKIP_1) | instid1(VALU_DEP_1)
	v_fma_f32 v5, v1, v30, -v4
	v_mul_f32_e32 v4, v1, v31
	v_fmac_f32_e32 v4, v0, v30
	global_load_b64 v[0:1], v[2:3], off
	s_wait_loadcnt 0x0
	v_mul_f32_e32 v6, v0, v22
	s_delay_alu instid0(VALU_DEP_1) | instskip(SKIP_1) | instid1(VALU_DEP_1)
	v_fma_f32 v7, v1, v21, -v6
	v_mul_f32_e32 v6, v1, v22
	v_fmac_f32_e32 v6, v0, v21
	v_add_co_u32 v0, vcc_lo, v2, s4
	s_wait_alu 0xfffd
	v_add_co_ci_u32_e32 v1, vcc_lo, s5, v3, vcc_lo
	ds_store_2addr_b64 v242, v[4:5], v[6:7] offset0:28 offset1:118
	v_add_co_u32 v2, vcc_lo, v0, s4
	s_wait_alu 0xfffd
	v_add_co_ci_u32_e32 v3, vcc_lo, s5, v1, vcc_lo
	global_load_b64 v[0:1], v[0:1], off
	s_wait_loadcnt 0x0
	v_mul_f32_e32 v4, v0, v20
	s_delay_alu instid0(VALU_DEP_1) | instskip(SKIP_1) | instid1(VALU_DEP_1)
	v_fma_f32 v5, v1, v19, -v4
	v_mul_f32_e32 v4, v1, v20
	v_fmac_f32_e32 v4, v0, v19
	v_add_co_u32 v0, vcc_lo, v2, s12
	s_wait_alu 0xfffd
	v_add_co_ci_u32_e32 v1, vcc_lo, s13, v3, vcc_lo
	global_load_b64 v[2:3], v[2:3], off
	v_add_co_u32 v6, vcc_lo, v0, s4
	s_wait_alu 0xfffd
	v_add_co_ci_u32_e32 v7, vcc_lo, s5, v1, vcc_lo
	global_load_b64 v[8:9], v[6:7], off
	s_wait_loadcnt 0x0
	v_mul_f32_e32 v10, v8, v12
	s_delay_alu instid0(VALU_DEP_1) | instskip(SKIP_1) | instid1(VALU_DEP_1)
	v_fma_f32 v10, v9, v11, -v10
	v_mul_f32_e32 v9, v9, v12
	v_dual_fmac_f32 v9, v8, v11 :: v_dual_add_nc_u32 v8, 0x2c00, v250
	ds_store_2addr_b64 v8, v[4:5], v[9:10] offset0:122 offset1:212
	v_add_co_u32 v4, vcc_lo, v6, s4
	v_mul_f32_e32 v6, v2, v16
	s_wait_alu 0xfffd
	v_add_co_ci_u32_e32 v5, vcc_lo, s5, v7, vcc_lo
	s_delay_alu instid0(VALU_DEP_2) | instskip(SKIP_1) | instid1(VALU_DEP_1)
	v_fma_f32 v7, v3, v15, -v6
	v_mul_f32_e32 v6, v3, v16
	v_fmac_f32_e32 v6, v2, v15
	global_load_b64 v[2:3], v[4:5], off
	s_clause 0x1
	global_load_b64 v[15:16], v250, s[8:9] offset:20160
	global_load_b64 v[10:11], v250, s[8:9] offset:20880
	s_wait_loadcnt 0x1
	v_mul_f32_e32 v8, v2, v16
	scratch_store_b64 off, v[15:16], off offset:16 ; 8-byte Folded Spill
	v_fma_f32 v9, v3, v15, -v8
	v_mul_f32_e32 v8, v3, v16
	s_delay_alu instid0(VALU_DEP_1)
	v_fmac_f32_e32 v8, v2, v15
	v_add_nc_u32_e32 v2, 0x4800, v250
	ds_store_2addr_b64 v2, v[6:7], v[8:9] offset0:126 offset1:216
	global_load_b64 v[0:1], v[0:1], off
	global_load_b64 v[6:7], v250, s[8:9] offset:5760
	v_mov_b32_e32 v28, v2
	v_add_co_u32 v2, vcc_lo, v4, s12
	s_wait_alu 0xfffd
	v_add_co_ci_u32_e32 v3, vcc_lo, s13, v5, vcc_lo
	s_clause 0x1
	scratch_store_b64 off, v[26:27], off offset:48
	scratch_store_b64 off, v[13:14], off offset:32
	s_wait_loadcnt 0x2
	scratch_store_b64 off, v[10:11], off offset:24 ; 8-byte Folded Spill
	v_mov_b32_e32 v215, v28
	v_add_co_u32 v213, s12, 0x10e, v88
	s_wait_loadcnt 0x0
	v_mul_f32_e32 v4, v0, v7
	scratch_store_b64 off, v[6:7], off offset:72 ; 8-byte Folded Spill
	v_fma_f32 v5, v1, v6, -v4
	v_mul_f32_e32 v4, v1, v7
	s_delay_alu instid0(VALU_DEP_1) | instskip(SKIP_3) | instid1(VALU_DEP_1)
	v_fmac_f32_e32 v4, v0, v6
	global_load_b64 v[0:1], v[2:3], off
	s_wait_loadcnt 0x0
	v_mul_f32_e32 v6, v0, v27
	v_fma_f32 v7, v1, v26, -v6
	v_mul_f32_e32 v6, v1, v27
	s_delay_alu instid0(VALU_DEP_1)
	v_fmac_f32_e32 v6, v0, v26
	v_add_nc_u32_e32 v0, 0x1400, v250
	ds_store_2addr_b64 v0, v[4:5], v[6:7] offset0:80 offset1:170
	v_mov_b32_e32 v208, v0
	v_add_co_u32 v0, vcc_lo, v2, s4
	s_wait_alu 0xfffd
	v_add_co_ci_u32_e32 v1, vcc_lo, s5, v3, vcc_lo
	s_delay_alu instid0(VALU_DEP_2) | instskip(SKIP_1) | instid1(VALU_DEP_2)
	v_add_co_u32 v2, vcc_lo, v0, s4
	s_wait_alu 0xfffd
	v_add_co_ci_u32_e32 v3, vcc_lo, s5, v1, vcc_lo
	global_load_b64 v[0:1], v[0:1], off
	v_cmp_gt_u16_e64 vcc_lo, 30, v181
	s_wait_loadcnt 0x0
	v_mul_f32_e32 v4, v0, v14
	s_delay_alu instid0(VALU_DEP_1) | instskip(SKIP_1) | instid1(VALU_DEP_1)
	v_fma_f32 v5, v1, v13, -v4
	v_mul_f32_e32 v4, v1, v14
	v_fmac_f32_e32 v4, v0, v13
	global_load_b64 v[0:1], v[2:3], off
	s_wait_loadcnt 0x0
	v_mul_f32_e32 v2, v0, v11
	s_delay_alu instid0(VALU_DEP_1) | instskip(SKIP_1) | instid1(VALU_DEP_1)
	v_fma_f32 v2, v1, v10, -v2
	v_mul_f32_e32 v1, v1, v11
	v_fmac_f32_e32 v1, v0, v10
	ds_store_b64 v250, v[4:5] offset:13680
	ds_store_b64 v250, v[1:2] offset:20880
	s_load_b128 s[4:7], s[6:7], 0x0
	global_wb scope:SCOPE_SE
	s_wait_storecnt_dscnt 0x0
	s_wait_kmcnt 0x0
	s_barrier_signal -1
	s_barrier_wait -1
	global_inv scope:SCOPE_SE
	ds_load_2addr_b64 v[58:61], v250 offset1:90
	ds_load_2addr_b64 v[0:3], v196 offset0:132 offset1:222
	ds_load_2addr_b64 v[4:7], v25 offset0:8 offset1:98
	s_mul_u64 s[2:3], s[4:5], s[2:3]
	s_wait_dscnt 0x1
	v_add_f32_e32 v8, v58, v0
	s_wait_dscnt 0x0
	v_dual_add_f32 v70, v0, v4 :: v_dual_sub_f32 v71, v1, v5
	v_add_f32_e32 v9, v59, v1
	v_dual_add_f32 v72, v1, v5 :: v_dual_sub_f32 v73, v0, v4
	v_dual_add_f32 v0, v60, v2 :: v_dual_add_f32 v1, v61, v3
	v_dual_add_f32 v74, v2, v6 :: v_dual_sub_f32 v75, v3, v7
	v_dual_add_f32 v76, v3, v7 :: v_dual_sub_f32 v77, v2, v6
	v_dual_add_f32 v44, v8, v4 :: v_dual_add_f32 v45, v9, v5
	s_delay_alu instid0(VALU_DEP_4)
	v_dual_add_f32 v66, v0, v6 :: v_dual_add_f32 v67, v1, v7
	ds_load_2addr_b64 v[0:3], v207 offset0:52 offset1:142
	ds_load_2addr_b64 v[4:7], v210 offset0:56 offset1:146
	;; [unrolled: 1-line block ×3, first 2 shown]
	v_fma_f32 v60, -0.5, v74, v60
	v_fmac_f32_e32 v61, -0.5, v76
	s_wait_dscnt 0x1
	v_add_f32_e32 v12, v0, v4
	s_wait_dscnt 0x0
	v_dual_add_f32 v78, v4, v8 :: v_dual_sub_f32 v79, v5, v9
	v_add_f32_e32 v13, v1, v5
	v_dual_add_f32 v80, v5, v9 :: v_dual_sub_f32 v81, v4, v8
	v_dual_add_f32 v4, v2, v6 :: v_dual_add_f32 v5, v3, v7
	v_add_f32_e32 v68, v12, v8
	v_add_nc_u32_e32 v12, 0x2400, v250
	v_dual_add_f32 v82, v6, v10 :: v_dual_sub_f32 v83, v7, v11
	v_dual_add_f32 v84, v7, v11 :: v_dual_sub_f32 v85, v6, v10
	v_dual_add_f32 v69, v13, v9 :: v_dual_add_f32 v16, v4, v10
	v_add_f32_e32 v17, v5, v11
	ds_load_2addr_b64 v[4:7], v184 offset0:104 offset1:194
	ds_load_2addr_b64 v[8:11], v12 offset0:108 offset1:198
	v_mov_b32_e32 v206, v12
	ds_load_2addr_b64 v[12:15], v211 offset0:112 offset1:202
	v_fma_f32 v0, -0.5, v78, v0
	v_fma_f32 v1, -0.5, v80, v1
	;; [unrolled: 1-line block ×3, first 2 shown]
	v_fmac_f32_e32 v3, -0.5, v84
	s_wait_dscnt 0x1
	v_dual_add_f32 v18, v4, v8 :: v_dual_add_f32 v19, v5, v9
	s_wait_dscnt 0x0
	v_add_f32_e32 v48, v8, v12
	v_sub_f32_e32 v40, v9, v13
	v_dual_add_f32 v52, v9, v13 :: v_dual_sub_f32 v43, v8, v12
	v_dual_add_f32 v8, v6, v10 :: v_dual_add_f32 v9, v7, v11
	v_dual_add_f32 v35, v10, v14 :: v_dual_sub_f32 v32, v11, v15
	v_dual_add_f32 v38, v11, v15 :: v_dual_sub_f32 v33, v10, v14
	v_dual_add_f32 v24, v18, v12 :: v_dual_add_f32 v25, v19, v13
	s_delay_alu instid0(VALU_DEP_4)
	v_dual_add_f32 v18, v8, v14 :: v_dual_add_f32 v19, v9, v15
	ds_load_2addr_b64 v[8:11], v242 offset0:28 offset1:118
	ds_load_2addr_b64 v[12:15], v212 offset0:160 offset1:250
	;; [unrolled: 1-line block ×3, first 2 shown]
	v_fma_f32 v6, -0.5, v35, v6
	s_wait_dscnt 0x1
	v_dual_fmac_f32 v7, -0.5, v38 :: v_dual_add_f32 v26, v8, v12
	s_wait_dscnt 0x0
	v_add_f32_e32 v50, v12, v20
	v_dual_sub_f32 v49, v12, v20 :: v_dual_add_f32 v12, v10, v14
	v_sub_f32_e32 v46, v13, v21
	v_add_f32_e32 v27, v9, v13
	v_dual_add_f32 v54, v13, v21 :: v_dual_add_f32 v13, v11, v15
	v_add_f32_e32 v37, v14, v22
	v_sub_f32_e32 v36, v14, v22
	v_add_f32_e32 v26, v26, v20
	v_add_f32_e32 v20, v12, v22
	v_add_nc_u32_e32 v22, 0x3000, v250
	v_sub_f32_e32 v34, v15, v23
	v_add_f32_e32 v41, v15, v23
	v_add_f32_e32 v27, v27, v21
	;; [unrolled: 1-line block ×3, first 2 shown]
	ds_load_2addr_b64 v[12:15], v208 offset0:80 offset1:170
	ds_load_2addr_b64 v[28:31], v22 offset0:84 offset1:174
	;; [unrolled: 1-line block ×3, first 2 shown]
	v_mov_b32_e32 v205, v22
	v_fma_f32 v10, -0.5, v37, v10
	s_wait_dscnt 0x1
	v_dual_fmac_f32 v11, -0.5, v41 :: v_dual_add_f32 v22, v12, v28
	s_wait_dscnt 0x0
	v_add_f32_e32 v56, v28, v62
	v_sub_f32_e32 v55, v28, v62
	v_add_f32_e32 v86, v14, v30
	v_add_f32_e32 v47, v30, v64
	;; [unrolled: 1-line block ×3, first 2 shown]
	v_mul_lo_u16 v62, v181, 3
	v_sub_f32_e32 v39, v31, v65
	v_add_f32_e32 v87, v15, v31
	v_dual_add_f32 v51, v31, v65 :: v_dual_sub_f32 v42, v30, v64
	v_fma_f32 v30, -0.5, v70, v58
	v_fma_f32 v31, -0.5, v72, v59
	v_dual_add_f32 v57, v29, v63 :: v_dual_and_b32 v62, 0xffff, v62
	s_delay_alu instid0(VALU_DEP_3) | instskip(NEXT) | instid1(VALU_DEP_2)
	v_dual_sub_f32 v53, v29, v63 :: v_dual_fmamk_f32 v58, v71, 0x3f5db3d7, v30
	v_dual_fmamk_f32 v59, v73, 0xbf5db3d7, v31 :: v_dual_lshlrev_b32 v62, 3, v62
	v_fmac_f32_e32 v30, 0xbf5db3d7, v71
	v_fmac_f32_e32 v31, 0x3f5db3d7, v73
	v_add_f32_e32 v23, v13, v29
	v_fma_f32 v14, -0.5, v47, v14
	scratch_store_b32 off, v62, off offset:260 ; 4-byte Folded Spill
	global_wb scope:SCOPE_SE
	s_wait_storecnt 0x0
	s_barrier_signal -1
	s_barrier_wait -1
	global_inv scope:SCOPE_SE
	ds_store_2addr_b64 v62, v[44:45], v[58:59] offset1:1
	ds_store_b64 v62, v[30:31] offset:16
	v_add_co_u32 v62, null, 0x5a, v88
	v_fmamk_f32 v44, v75, 0x3f5db3d7, v60
	v_fmamk_f32 v45, v77, 0xbf5db3d7, v61
	v_add_co_u32 v58, null, 0xb4, v88
	s_delay_alu instid0(VALU_DEP_4) | instskip(SKIP_3) | instid1(VALU_DEP_4)
	v_mul_u32_u24_e32 v30, 3, v62
	v_fmac_f32_e32 v60, 0xbf5db3d7, v75
	v_fmac_f32_e32 v61, 0x3f5db3d7, v77
	v_add_f32_e32 v29, v23, v63
	v_dual_fmac_f32 v15, -0.5, v51 :: v_dual_lshlrev_b32 v30, 3, v30
	v_dual_add_f32 v22, v86, v64 :: v_dual_add_f32 v23, v87, v65
	scratch_store_b32 off, v30, off offset:256 ; 4-byte Folded Spill
	ds_store_2addr_b64 v30, v[66:67], v[44:45] offset1:1
	ds_store_b64 v30, v[60:61] offset:16
	v_mul_u32_u24_e32 v30, 3, v58
	v_fmamk_f32 v44, v79, 0x3f5db3d7, v0
	v_dual_fmamk_f32 v45, v81, 0xbf5db3d7, v1 :: v_dual_fmac_f32 v0, 0xbf5db3d7, v79
	s_delay_alu instid0(VALU_DEP_3)
	v_dual_fmac_f32 v1, 0x3f5db3d7, v81 :: v_dual_lshlrev_b32 v30, 3, v30
	v_add_co_ci_u32_e64 v60, null, 0, 0, s12
	scratch_store_b32 off, v30, off offset:252 ; 4-byte Folded Spill
	ds_store_2addr_b64 v30, v[68:69], v[44:45] offset1:1
	ds_store_b64 v30, v[0:1] offset:16
	v_mul_u32_u24_e32 v30, 3, v213
	v_fmamk_f32 v0, v83, 0x3f5db3d7, v2
	v_dual_fmamk_f32 v1, v85, 0xbf5db3d7, v3 :: v_dual_fmac_f32 v2, 0xbf5db3d7, v83
	v_fmac_f32_e32 v3, 0x3f5db3d7, v85
	s_delay_alu instid0(VALU_DEP_4)
	v_lshlrev_b32_e32 v255, 3, v30
	ds_store_2addr_b64 v255, v[16:17], v[0:1] offset1:1
	ds_store_b64 v255, v[2:3] offset:16
	v_fma_f32 v0, -0.5, v48, v4
	v_fma_f32 v1, -0.5, v52, v5
	v_mul_u32_u24_e32 v4, 3, v189
	v_add_co_u32 v52, null, 0x21c, v88
	s_delay_alu instid0(VALU_DEP_4) | instskip(NEXT) | instid1(VALU_DEP_4)
	v_fmamk_f32 v2, v40, 0x3f5db3d7, v0
	v_fmamk_f32 v3, v43, 0xbf5db3d7, v1
	s_delay_alu instid0(VALU_DEP_4)
	v_lshlrev_b32_e32 v249, 3, v4
	v_fmac_f32_e32 v0, 0xbf5db3d7, v40
	v_fmac_f32_e32 v1, 0x3f5db3d7, v43
	ds_store_2addr_b64 v249, v[24:25], v[2:3] offset1:1
	ds_store_b64 v249, v[0:1] offset:16
	v_mul_u32_u24_e32 v2, 3, v193
	v_fmamk_f32 v0, v32, 0x3f5db3d7, v6
	v_dual_fmamk_f32 v1, v33, 0xbf5db3d7, v7 :: v_dual_fmac_f32 v6, 0xbf5db3d7, v32
	s_delay_alu instid0(VALU_DEP_3)
	v_dual_fmac_f32 v7, 0x3f5db3d7, v33 :: v_dual_lshlrev_b32 v2, 3, v2
	v_mul_u32_u24_e32 v4, 3, v52
	scratch_store_b32 off, v2, off offset:484 ; 4-byte Folded Spill
	ds_store_2addr_b64 v2, v[18:19], v[0:1] offset1:1
	ds_store_b64 v2, v[6:7] offset:16
	v_fma_f32 v0, -0.5, v50, v8
	v_fma_f32 v1, -0.5, v54, v9
	v_lshlrev_b32_e32 v4, 3, v4
	v_add_co_u32 v54, null, 0x276, v88
	s_delay_alu instid0(VALU_DEP_4) | instskip(NEXT) | instid1(VALU_DEP_4)
	v_fmamk_f32 v2, v46, 0x3f5db3d7, v0
	v_dual_fmamk_f32 v3, v49, 0xbf5db3d7, v1 :: v_dual_fmac_f32 v0, 0xbf5db3d7, v46
	v_fmac_f32_e32 v1, 0x3f5db3d7, v49
	scratch_store_b32 off, v4, off offset:468 ; 4-byte Folded Spill
	ds_store_2addr_b64 v4, v[26:27], v[2:3] offset1:1
	ds_store_b64 v4, v[0:1] offset:16
	v_mul_u32_u24_e32 v2, 3, v54
	v_fmamk_f32 v0, v34, 0x3f5db3d7, v10
	v_dual_fmamk_f32 v1, v36, 0xbf5db3d7, v11 :: v_dual_fmac_f32 v10, 0xbf5db3d7, v34
	s_delay_alu instid0(VALU_DEP_3)
	v_dual_fmac_f32 v11, 0x3f5db3d7, v36 :: v_dual_lshlrev_b32 v2, 3, v2
	v_mul_u32_u24_e32 v4, 3, v188
	scratch_store_b32 off, v2, off offset:464 ; 4-byte Folded Spill
	ds_store_2addr_b64 v2, v[20:21], v[0:1] offset1:1
	ds_store_b64 v2, v[10:11] offset:16
	v_fma_f32 v0, -0.5, v56, v12
	v_fma_f32 v1, -0.5, v57, v13
	v_lshlrev_b32_e32 v4, 3, v4
	s_delay_alu instid0(VALU_DEP_3) | instskip(NEXT) | instid1(VALU_DEP_3)
	v_fmamk_f32 v2, v53, 0x3f5db3d7, v0
	v_dual_fmamk_f32 v3, v55, 0xbf5db3d7, v1 :: v_dual_fmac_f32 v0, 0xbf5db3d7, v53
	v_fmac_f32_e32 v1, 0x3f5db3d7, v55
	scratch_store_b32 off, v4, off offset:460 ; 4-byte Folded Spill
	ds_store_2addr_b64 v4, v[28:29], v[2:3] offset1:1
	ds_store_b64 v4, v[0:1] offset:16
	v_mul_u32_u24_e32 v2, 3, v190
	v_fmamk_f32 v0, v39, 0x3f5db3d7, v14
	v_dual_fmamk_f32 v1, v42, 0xbf5db3d7, v15 :: v_dual_fmac_f32 v14, 0xbf5db3d7, v39
	v_fmac_f32_e32 v15, 0x3f5db3d7, v42
	s_delay_alu instid0(VALU_DEP_4)
	v_lshlrev_b32_e32 v2, 3, v2
	scratch_store_b32 off, v2, off offset:456 ; 4-byte Folded Spill
	ds_store_2addr_b64 v2, v[22:23], v[0:1] offset1:1
	ds_store_b64 v2, v[14:15] offset:16
	v_and_b32_e32 v0, 0xff, v181
	v_and_b32_e32 v2, 0xff, v62
	global_wb scope:SCOPE_SE
	s_wait_storecnt_dscnt 0x0
	s_barrier_signal -1
	s_barrier_wait -1
	v_mul_lo_u16 v1, 0xab, v0
	v_mul_lo_u16 v3, 0xab, v2
	global_inv scope:SCOPE_SE
	v_lshrrev_b16 v11, 9, v1
	v_lshrrev_b16 v15, 9, v3
	ds_load_2addr_b64 v[3:6], v242 offset0:28 offset1:118
	v_mul_lo_u16 v1, v11, 3
	s_delay_alu instid0(VALU_DEP_1) | instskip(NEXT) | instid1(VALU_DEP_1)
	v_sub_nc_u16 v1, v181, v1
	v_and_b32_e32 v12, 0xff, v1
	v_mul_lo_u16 v1, v15, 3
	s_delay_alu instid0(VALU_DEP_2) | instskip(NEXT) | instid1(VALU_DEP_2)
	v_mad_co_u64_u32 v[7:8], null, 0x48, v12, s[10:11]
	v_sub_nc_u16 v1, v62, v1
	s_delay_alu instid0(VALU_DEP_1)
	v_and_b32_e32 v16, 0xff, v1
	s_clause 0x1
	global_load_b128 v[128:131], v[7:8], off
	global_load_b128 v[136:139], v[7:8], off offset:16
	v_mad_co_u64_u32 v[9:10], null, 0x48, v16, s[10:11]
	s_clause 0x1
	global_load_b64 v[243:244], v[7:8], off offset:64
	global_load_b128 v[132:135], v[9:10], off
	s_wait_loadcnt_dscnt 0x300
	v_mul_f32_e32 v1, v4, v131
	v_mul_f32_e32 v18, v3, v131
	s_delay_alu instid0(VALU_DEP_2) | instskip(SKIP_1) | instid1(VALU_DEP_2)
	v_fma_f32 v17, v3, v130, -v1
	s_wait_loadcnt 0x0
	v_dual_fmac_f32 v18, v4, v130 :: v_dual_mul_f32 v1, v6, v135
	v_mul_f32_e32 v20, v5, v135
	s_delay_alu instid0(VALU_DEP_2) | instskip(NEXT) | instid1(VALU_DEP_2)
	v_fma_f32 v19, v5, v134, -v1
	v_fmac_f32_e32 v20, v6, v134
	ds_load_2addr_b64 v[3:6], v210 offset0:56 offset1:146
	s_clause 0x3
	global_load_b128 v[140:143], v[9:10], off offset:16
	global_load_b128 v[152:155], v[9:10], off offset:32
	;; [unrolled: 1-line block ×4, first 2 shown]
	s_wait_dscnt 0x0
	v_mul_f32_e32 v1, v4, v139
	v_mul_f32_e32 v22, v3, v139
	s_delay_alu instid0(VALU_DEP_2) | instskip(SKIP_1) | instid1(VALU_DEP_2)
	v_fma_f32 v21, v3, v138, -v1
	s_wait_loadcnt 0x3
	v_dual_fmac_f32 v22, v4, v138 :: v_dual_mul_f32 v1, v6, v143
	v_mul_f32_e32 v24, v5, v143
	s_delay_alu instid0(VALU_DEP_2) | instskip(NEXT) | instid1(VALU_DEP_2)
	v_fma_f32 v23, v5, v142, -v1
	v_fmac_f32_e32 v24, v6, v142
	ds_load_2addr_b64 v[3:6], v205 offset0:84 offset1:174
	s_wait_loadcnt_dscnt 0x100
	v_mul_f32_e32 v1, v4, v147
	v_mul_f32_e32 v26, v3, v147
	;; [unrolled: 1-line block ×3, first 2 shown]
	s_delay_alu instid0(VALU_DEP_3) | instskip(NEXT) | instid1(VALU_DEP_3)
	v_fma_f32 v25, v3, v146, -v1
	v_dual_mul_f32 v1, v6, v155 :: v_dual_fmac_f32 v26, v4, v146
	s_delay_alu instid0(VALU_DEP_2) | instskip(NEXT) | instid1(VALU_DEP_2)
	v_dual_fmac_f32 v28, v6, v154 :: v_dual_add_f32 v89, v21, v25
	v_fma_f32 v27, v5, v154, -v1
	ds_load_2addr_b64 v[3:6], v211 offset0:112 offset1:202
	s_clause 0x1
	global_load_b64 v[245:246], v[9:10], off offset:64
	global_load_b128 v[164:167], v[9:10], off offset:48
	v_dual_sub_f32 v93, v22, v26 :: v_dual_sub_f32 v96, v21, v25
	s_wait_loadcnt_dscnt 0x200
	v_mul_f32_e32 v1, v4, v159
	v_mul_f32_e32 v30, v3, v159
	s_delay_alu instid0(VALU_DEP_2) | instskip(NEXT) | instid1(VALU_DEP_1)
	v_fma_f32 v29, v3, v158, -v1
	v_dual_fmac_f32 v30, v4, v158 :: v_dual_sub_f32 v95, v17, v29
	s_delay_alu instid0(VALU_DEP_1) | instskip(SKIP_3) | instid1(VALU_DEP_2)
	v_sub_f32_e32 v92, v18, v30
	s_wait_loadcnt 0x0
	v_mul_f32_e32 v1, v6, v167
	v_mul_f32_e32 v32, v5, v167
	v_fma_f32 v31, v5, v166, -v1
	v_and_b32_e32 v1, 0xffff, v58
	s_delay_alu instid0(VALU_DEP_3) | instskip(SKIP_1) | instid1(VALU_DEP_3)
	v_fmac_f32_e32 v32, v6, v166
	v_add_f32_e32 v90, v22, v26
	v_mul_u32_u24_e32 v3, 0xaaab, v1
	s_delay_alu instid0(VALU_DEP_1) | instskip(NEXT) | instid1(VALU_DEP_1)
	v_lshrrev_b32_e32 v33, 17, v3
	v_mul_lo_u16 v3, v33, 3
	s_delay_alu instid0(VALU_DEP_1) | instskip(NEXT) | instid1(VALU_DEP_1)
	v_sub_nc_u16 v34, v58, v3
	v_mul_lo_u16 v3, 0x48, v34
	s_delay_alu instid0(VALU_DEP_1) | instskip(NEXT) | instid1(VALU_DEP_1)
	v_and_b32_e32 v3, 0xffff, v3
	v_add_co_u32 v9, s12, s10, v3
	s_wait_alu 0xf1ff
	v_add_co_ci_u32_e64 v10, null, s11, 0, s12
	ds_load_2addr_b64 v[3:6], v184 offset0:104 offset1:194
	s_clause 0x1
	global_load_b128 v[148:151], v[9:10], off
	global_load_b128 v[160:163], v[9:10], off offset:16
	s_wait_dscnt 0x0
	v_mul_f32_e32 v7, v4, v133
	v_mul_f32_e32 v36, v3, v133
	s_delay_alu instid0(VALU_DEP_2) | instskip(SKIP_1) | instid1(VALU_DEP_2)
	v_fma_f32 v35, v3, v132, -v7
	s_wait_loadcnt 0x1
	v_dual_fmac_f32 v36, v4, v132 :: v_dual_mul_f32 v3, v6, v149
	v_mul_f32_e32 v4, v5, v149
	s_delay_alu instid0(VALU_DEP_2) | instskip(NEXT) | instid1(VALU_DEP_2)
	v_fma_f32 v3, v5, v148, -v3
	v_fmac_f32_e32 v4, v6, v148
	ds_load_2addr_b64 v[5:8], v208 offset0:80 offset1:170
	s_wait_dscnt 0x0
	v_mul_f32_e32 v13, v8, v137
	v_mul_f32_e32 v38, v7, v137
	;; [unrolled: 1-line block ×3, first 2 shown]
	s_delay_alu instid0(VALU_DEP_3) | instskip(NEXT) | instid1(VALU_DEP_3)
	v_fma_f32 v37, v7, v136, -v13
	v_dual_mul_f32 v7, v6, v151 :: v_dual_fmac_f32 v38, v8, v136
	s_delay_alu instid0(VALU_DEP_3) | instskip(NEXT) | instid1(VALU_DEP_2)
	v_fmac_f32_e32 v40, v6, v150
	v_fma_f32 v39, v5, v150, -v7
	ds_load_2addr_b64 v[5:8], v196 offset0:132 offset1:222
	s_wait_dscnt 0x0
	v_mul_f32_e32 v13, v6, v141
	v_mul_f32_e32 v42, v5, v141
	s_wait_loadcnt 0x0
	v_mul_f32_e32 v44, v7, v161
	s_delay_alu instid0(VALU_DEP_3) | instskip(NEXT) | instid1(VALU_DEP_3)
	v_fma_f32 v41, v5, v140, -v13
	v_dual_mul_f32 v5, v8, v161 :: v_dual_fmac_f32 v42, v6, v140
	s_delay_alu instid0(VALU_DEP_3) | instskip(NEXT) | instid1(VALU_DEP_2)
	v_fmac_f32_e32 v44, v8, v160
	v_fma_f32 v43, v7, v160, -v5
	ds_load_2addr_b64 v[5:8], v206 offset0:108 offset1:198
	s_wait_dscnt 0x0
	v_mul_f32_e32 v13, v8, v145
	v_mul_f32_e32 v46, v7, v145
	;; [unrolled: 1-line block ×3, first 2 shown]
	s_delay_alu instid0(VALU_DEP_3) | instskip(NEXT) | instid1(VALU_DEP_3)
	v_fma_f32 v45, v7, v144, -v13
	v_dual_mul_f32 v7, v6, v163 :: v_dual_fmac_f32 v46, v8, v144
	s_delay_alu instid0(VALU_DEP_3) | instskip(NEXT) | instid1(VALU_DEP_2)
	v_fmac_f32_e32 v48, v6, v162
	v_fma_f32 v47, v5, v162, -v7
	ds_load_2addr_b64 v[5:8], v212 offset0:160 offset1:250
	s_clause 0x2
	global_load_b128 v[168:171], v[9:10], off offset:32
	global_load_b128 v[172:175], v[9:10], off offset:48
	global_load_b64 v[247:248], v[9:10], off offset:64
	s_wait_dscnt 0x0
	v_mul_f32_e32 v13, v6, v153
	v_mul_f32_e32 v50, v5, v153
	s_delay_alu instid0(VALU_DEP_2) | instskip(SKIP_1) | instid1(VALU_DEP_2)
	v_fma_f32 v49, v5, v152, -v13
	s_wait_loadcnt 0x2
	v_dual_fmac_f32 v50, v6, v152 :: v_dual_mul_f32 v5, v8, v169
	v_mul_f32_e32 v53, v7, v169
	s_delay_alu instid0(VALU_DEP_2) | instskip(NEXT) | instid1(VALU_DEP_2)
	v_fma_f32 v51, v7, v168, -v5
	v_fmac_f32_e32 v53, v8, v168
	ds_load_2addr_b64 v[5:8], v214 offset0:8 offset1:98
	s_wait_dscnt 0x0
	v_mul_f32_e32 v13, v8, v157
	v_dual_mul_f32 v56, v7, v157 :: v_dual_mul_f32 v61, v5, v171
	s_delay_alu instid0(VALU_DEP_2) | instskip(NEXT) | instid1(VALU_DEP_2)
	v_fma_f32 v55, v7, v156, -v13
	v_dual_mul_f32 v7, v6, v171 :: v_dual_fmac_f32 v56, v8, v156
	s_delay_alu instid0(VALU_DEP_2) | instskip(NEXT) | instid1(VALU_DEP_2)
	v_dual_fmac_f32 v61, v6, v170 :: v_dual_sub_f32 v84, v45, v55
	v_fma_f32 v57, v5, v170, -v7
	ds_load_2addr_b64 v[5:8], v186 offset0:60 offset1:150
	v_sub_f32_e32 v86, v46, v56
	s_wait_dscnt 0x0
	v_mul_f32_e32 v13, v6, v165
	v_mul_f32_e32 v64, v5, v165
	s_wait_loadcnt 0x1
	v_mul_f32_e32 v66, v7, v173
	s_delay_alu instid0(VALU_DEP_3) | instskip(NEXT) | instid1(VALU_DEP_3)
	v_fma_f32 v63, v5, v164, -v13
	v_dual_mul_f32 v5, v8, v173 :: v_dual_fmac_f32 v64, v6, v164
	s_delay_alu instid0(VALU_DEP_3) | instskip(NEXT) | instid1(VALU_DEP_2)
	v_fmac_f32_e32 v66, v8, v172
	v_fma_f32 v65, v7, v172, -v5
	ds_load_2addr_b64 v[5:8], v215 offset0:36 offset1:126
	s_wait_dscnt 0x0
	v_mul_f32_e32 v13, v8, v244
	v_mul_f32_e32 v68, v7, v244
	;; [unrolled: 1-line block ×3, first 2 shown]
	s_delay_alu instid0(VALU_DEP_3) | instskip(SKIP_1) | instid1(VALU_DEP_4)
	v_fma_f32 v67, v7, v243, -v13
	v_mul_f32_e32 v7, v6, v175
	v_fmac_f32_e32 v68, v8, v243
	s_delay_alu instid0(VALU_DEP_3) | instskip(NEXT) | instid1(VALU_DEP_3)
	v_dual_fmac_f32 v70, v6, v174 :: v_dual_sub_f32 v83, v37, v67
	v_fma_f32 v69, v5, v174, -v7
	ds_load_2addr_b64 v[5:8], v185 offset0:88 offset1:178
	v_sub_f32_e32 v85, v38, v68
	s_wait_dscnt 0x0
	v_mul_f32_e32 v9, v6, v246
	v_mul_f32_e32 v72, v5, v246
	s_wait_loadcnt 0x0
	v_mul_f32_e32 v74, v7, v248
	s_delay_alu instid0(VALU_DEP_3) | instskip(NEXT) | instid1(VALU_DEP_3)
	v_fma_f32 v71, v5, v245, -v9
	v_dual_mul_f32 v5, v8, v248 :: v_dual_fmac_f32 v72, v6, v245
	v_sub_f32_e32 v6, v29, v25
	s_delay_alu instid0(VALU_DEP_4) | instskip(NEXT) | instid1(VALU_DEP_3)
	v_fmac_f32_e32 v74, v8, v247
	v_fma_f32 v73, v7, v247, -v5
	v_and_b32_e32 v5, 0xffff, v11
	s_delay_alu instid0(VALU_DEP_1) | instskip(NEXT) | instid1(VALU_DEP_1)
	v_mul_u32_u24_e32 v5, 30, v5
	v_add_lshl_u32 v197, v5, v12, 3
	v_sub_f32_e32 v5, v17, v21
	s_delay_alu instid0(VALU_DEP_1) | instskip(SKIP_2) | instid1(VALU_DEP_1)
	v_add_f32_e32 v75, v5, v6
	v_sub_f32_e32 v5, v18, v22
	v_sub_f32_e32 v6, v30, v26
	v_add_f32_e32 v76, v5, v6
	v_dual_sub_f32 v5, v37, v45 :: v_dual_sub_f32 v6, v67, v55
	s_delay_alu instid0(VALU_DEP_1) | instskip(SKIP_1) | instid1(VALU_DEP_1)
	v_add_f32_e32 v77, v5, v6
	v_dual_sub_f32 v5, v38, v46 :: v_dual_sub_f32 v6, v68, v56
	v_add_f32_e32 v78, v5, v6
	ds_load_2addr_b64 v[5:8], v207 offset0:52 offset1:142
	s_wait_dscnt 0x0
	v_mul_f32_e32 v9, v8, v129
	v_mul_f32_e32 v80, v7, v129
	s_delay_alu instid0(VALU_DEP_2) | instskip(NEXT) | instid1(VALU_DEP_2)
	v_fma_f32 v79, v7, v128, -v9
	v_dual_add_f32 v7, v45, v55 :: v_dual_fmac_f32 v80, v8, v128
	s_delay_alu instid0(VALU_DEP_2) | instskip(NEXT) | instid1(VALU_DEP_2)
	v_add_f32_e32 v14, v79, v37
	v_fma_f32 v81, -0.5, v7, v79
	v_add_f32_e32 v7, v46, v56
	s_delay_alu instid0(VALU_DEP_3) | instskip(NEXT) | instid1(VALU_DEP_3)
	v_add_f32_e32 v14, v14, v45
	v_fmamk_f32 v8, v85, 0x3f737871, v81
	s_delay_alu instid0(VALU_DEP_3) | instskip(NEXT) | instid1(VALU_DEP_3)
	v_fma_f32 v82, -0.5, v7, v80
	v_dual_fmac_f32 v81, 0xbf737871, v85 :: v_dual_add_f32 v14, v14, v55
	s_delay_alu instid0(VALU_DEP_3) | instskip(NEXT) | instid1(VALU_DEP_3)
	v_fmac_f32_e32 v8, 0x3f167918, v86
	v_fmamk_f32 v7, v83, 0xbf737871, v82
	s_delay_alu instid0(VALU_DEP_3) | instskip(SKIP_1) | instid1(VALU_DEP_4)
	v_fmac_f32_e32 v81, 0xbf167918, v86
	v_add_f32_e32 v13, v80, v38
	v_dual_add_f32 v99, v14, v67 :: v_dual_fmac_f32 v8, 0x3e9e377a, v77
	s_delay_alu instid0(VALU_DEP_4) | instskip(NEXT) | instid1(VALU_DEP_3)
	v_fmac_f32_e32 v7, 0xbf167918, v84
	v_dual_fmac_f32 v82, 0x3f737871, v83 :: v_dual_add_f32 v13, v13, v46
	v_fmac_f32_e32 v81, 0x3e9e377a, v77
	s_delay_alu instid0(VALU_DEP_4) | instskip(NEXT) | instid1(VALU_DEP_4)
	v_mul_f32_e32 v88, 0xbf167918, v8
	v_fmac_f32_e32 v7, 0x3e9e377a, v78
	s_delay_alu instid0(VALU_DEP_4) | instskip(SKIP_1) | instid1(VALU_DEP_3)
	v_fmac_f32_e32 v82, 0x3f167918, v84
	v_add_f32_e32 v13, v13, v56
	v_mul_f32_e32 v87, 0x3f167918, v7
	v_fmac_f32_e32 v88, 0x3f4f1bbd, v7
	s_delay_alu instid0(VALU_DEP_3) | instskip(SKIP_1) | instid1(VALU_DEP_4)
	v_add_f32_e32 v100, v13, v68
	v_fmac_f32_e32 v82, 0x3e9e377a, v78
	v_fmac_f32_e32 v87, 0x3f4f1bbd, v8
	ds_load_2addr_b64 v[7:10], v250 offset1:90
	global_wb scope:SCOPE_SE
	s_wait_dscnt 0x0
	s_barrier_signal -1
	s_barrier_wait -1
	global_inv scope:SCOPE_SE
	v_dual_add_f32 v11, v7, v17 :: v_dual_add_f32 v12, v8, v18
	v_fma_f32 v89, -0.5, v89, v7
	v_fma_f32 v90, -0.5, v90, v8
	s_delay_alu instid0(VALU_DEP_3) | instskip(NEXT) | instid1(VALU_DEP_3)
	v_dual_add_f32 v11, v11, v21 :: v_dual_add_f32 v12, v12, v22
	v_fmamk_f32 v94, v92, 0x3f737871, v89
	s_delay_alu instid0(VALU_DEP_3) | instskip(SKIP_1) | instid1(VALU_DEP_4)
	v_fmamk_f32 v97, v95, 0xbf737871, v90
	v_fmac_f32_e32 v89, 0xbf737871, v92
	v_dual_add_f32 v11, v11, v25 :: v_dual_add_f32 v12, v12, v26
	s_delay_alu instid0(VALU_DEP_4) | instskip(NEXT) | instid1(VALU_DEP_4)
	v_fmac_f32_e32 v94, 0x3f167918, v93
	v_fmac_f32_e32 v97, 0xbf167918, v96
	s_delay_alu instid0(VALU_DEP_3) | instskip(NEXT) | instid1(VALU_DEP_4)
	v_dual_fmac_f32 v90, 0x3f737871, v95 :: v_dual_add_f32 v91, v11, v29
	v_add_f32_e32 v98, v12, v30
	s_delay_alu instid0(VALU_DEP_3) | instskip(SKIP_1) | instid1(VALU_DEP_3)
	v_dual_fmac_f32 v94, 0x3e9e377a, v75 :: v_dual_fmac_f32 v97, 0x3e9e377a, v76
	v_fmac_f32_e32 v89, 0xbf167918, v93
	v_dual_add_f32 v11, v91, v99 :: v_dual_add_f32 v12, v98, v100
	s_delay_alu instid0(VALU_DEP_3) | instskip(SKIP_1) | instid1(VALU_DEP_4)
	v_dual_add_f32 v13, v94, v87 :: v_dual_add_f32 v14, v97, v88
	v_fmac_f32_e32 v90, 0x3f167918, v96
	v_fmac_f32_e32 v89, 0x3e9e377a, v75
	ds_store_2addr_b64 v197, v[11:12], v[13:14] offset1:3
	v_add_f32_e32 v12, v17, v29
	v_dual_sub_f32 v13, v25, v29 :: v_dual_sub_f32 v14, v22, v18
	v_dual_add_f32 v22, v37, v67 :: v_dual_add_f32 v29, v38, v68
	v_sub_f32_e32 v11, v21, v17
	v_add_f32_e32 v17, v18, v30
	v_dual_sub_f32 v18, v26, v30 :: v_dual_sub_f32 v21, v45, v37
	v_sub_f32_e32 v25, v55, v67
	v_dual_fmac_f32 v79, -0.5, v22 :: v_dual_fmac_f32 v80, -0.5, v29
	v_sub_f32_e32 v26, v46, v38
	v_dual_sub_f32 v30, v56, v68 :: v_dual_add_f32 v11, v11, v13
	s_delay_alu instid0(VALU_DEP_4)
	v_dual_add_f32 v13, v14, v18 :: v_dual_add_f32 v14, v21, v25
	v_fma_f32 v21, -0.5, v12, v7
	v_fma_f32 v17, -0.5, v17, v8
	v_sub_f32_e32 v67, v19, v31
	v_fmamk_f32 v7, v86, 0xbf737871, v79
	v_dual_fmac_f32 v79, 0x3f737871, v86 :: v_dual_fmamk_f32 v8, v84, 0x3f737871, v80
	v_fmac_f32_e32 v80, 0xbf737871, v84
	v_dual_add_f32 v18, v26, v30 :: v_dual_fmamk_f32 v25, v96, 0x3f737871, v17
	v_fmac_f32_e32 v17, 0xbf737871, v96
	v_fmac_f32_e32 v7, 0x3f167918, v85
	v_dual_fmac_f32 v79, 0xbf167918, v85 :: v_dual_fmac_f32 v8, 0xbf167918, v83
	v_sub_f32_e32 v68, v23, v27
	v_fmac_f32_e32 v80, 0x3f167918, v83
	v_fmamk_f32 v22, v93, 0xbf737871, v21
	v_fmac_f32_e32 v21, 0x3f737871, v93
	v_fmac_f32_e32 v25, 0xbf167918, v95
	;; [unrolled: 1-line block ×11, first 2 shown]
	v_mul_f32_e32 v13, 0x3f737871, v8
	v_mul_f32_e32 v14, 0xbf737871, v7
	;; [unrolled: 1-line block ×4, first 2 shown]
	v_fmac_f32_e32 v22, 0x3e9e377a, v11
	v_fmac_f32_e32 v21, 0x3e9e377a, v11
	v_dual_fmac_f32 v13, 0x3e9e377a, v7 :: v_dual_fmac_f32 v14, 0x3e9e377a, v8
	v_fmac_f32_e32 v18, 0x3f737871, v80
	v_fmac_f32_e32 v26, 0xbf737871, v79
	v_dual_mul_f32 v29, 0xbf4f1bbd, v81 :: v_dual_mul_f32 v30, 0xbf4f1bbd, v82
	s_delay_alu instid0(VALU_DEP_4) | instskip(NEXT) | instid1(VALU_DEP_4)
	v_dual_add_f32 v7, v22, v13 :: v_dual_add_f32 v8, v25, v14
	v_add_f32_e32 v11, v21, v18
	s_delay_alu instid0(VALU_DEP_4)
	v_add_f32_e32 v12, v17, v26
	v_fmac_f32_e32 v90, 0x3e9e377a, v76
	v_fmac_f32_e32 v29, 0x3f167918, v82
	;; [unrolled: 1-line block ×3, first 2 shown]
	v_sub_f32_e32 v46, v20, v32
	ds_store_2addr_b64 v197, v[7:8], v[11:12] offset0:6 offset1:9
	v_dual_sub_f32 v7, v91, v99 :: v_dual_sub_f32 v8, v98, v100
	v_dual_add_f32 v11, v89, v29 :: v_dual_add_f32 v12, v90, v30
	v_sub_f32_e32 v55, v24, v28
	v_mul_lo_u16 v0, 0x89, v0
	v_mul_lo_u16 v2, 0x89, v2
	ds_store_2addr_b64 v197, v[11:12], v[7:8] offset0:12 offset1:15
	v_sub_f32_e32 v7, v94, v87
	v_dual_sub_f32 v11, v22, v13 :: v_dual_sub_f32 v12, v25, v14
	v_sub_f32_e32 v25, v42, v72
	v_sub_f32_e32 v8, v97, v88
	;; [unrolled: 1-line block ×3, first 2 shown]
	ds_store_2addr_b64 v197, v[7:8], v[11:12] offset0:18 offset1:21
	v_sub_f32_e32 v7, v21, v18
	v_sub_f32_e32 v8, v17, v26
	v_dual_sub_f32 v11, v89, v29 :: v_dual_sub_f32 v12, v90, v30
	v_sub_f32_e32 v21, v41, v71
	ds_store_2addr_b64 v197, v[7:8], v[11:12] offset0:24 offset1:27
	v_and_b32_e32 v7, 0xffff, v15
	v_sub_f32_e32 v8, v31, v27
	v_dual_add_f32 v11, v23, v27 :: v_dual_add_f32 v12, v36, v42
	s_delay_alu instid0(VALU_DEP_3) | instskip(NEXT) | instid1(VALU_DEP_2)
	v_mul_u32_u24_e32 v7, 30, v7
	v_fma_f32 v38, -0.5, v11, v9
	s_delay_alu instid0(VALU_DEP_3) | instskip(NEXT) | instid1(VALU_DEP_3)
	v_dual_add_f32 v11, v35, v41 :: v_dual_add_f32 v12, v12, v50
	v_add_lshl_u32 v79, v7, v16, 3
	s_delay_alu instid0(VALU_DEP_3) | instskip(NEXT) | instid1(VALU_DEP_3)
	v_dual_sub_f32 v7, v19, v23 :: v_dual_fmamk_f32 v56, v46, 0x3f737871, v38
	v_dual_add_f32 v11, v11, v49 :: v_dual_fmac_f32 v38, 0xbf737871, v46
	s_delay_alu instid0(VALU_DEP_2) | instskip(SKIP_4) | instid1(VALU_DEP_3)
	v_add_f32_e32 v13, v7, v8
	v_sub_f32_e32 v7, v20, v24
	v_sub_f32_e32 v8, v32, v28
	v_fmac_f32_e32 v56, 0x3f167918, v55
	v_fmac_f32_e32 v38, 0xbf167918, v55
	v_dual_add_f32 v14, v7, v8 :: v_dual_sub_f32 v7, v41, v49
	v_sub_f32_e32 v8, v71, v63
	v_sub_f32_e32 v26, v50, v64
	v_fmac_f32_e32 v56, 0x3e9e377a, v13
	s_delay_alu instid0(VALU_DEP_3) | instskip(SKIP_1) | instid1(VALU_DEP_1)
	v_dual_fmac_f32 v38, 0x3e9e377a, v13 :: v_dual_add_f32 v15, v7, v8
	v_dual_sub_f32 v7, v42, v50 :: v_dual_sub_f32 v8, v72, v64
	v_dual_add_f32 v16, v7, v8 :: v_dual_add_f32 v7, v49, v63
	s_delay_alu instid0(VALU_DEP_1) | instskip(NEXT) | instid1(VALU_DEP_1)
	v_fma_f32 v17, -0.5, v7, v35
	v_dual_add_f32 v7, v50, v64 :: v_dual_fmamk_f32 v8, v25, 0x3f737871, v17
	s_delay_alu instid0(VALU_DEP_1) | instskip(SKIP_1) | instid1(VALU_DEP_3)
	v_fma_f32 v18, -0.5, v7, v36
	v_fmac_f32_e32 v17, 0xbf737871, v25
	v_fmac_f32_e32 v8, 0x3f167918, v26
	s_delay_alu instid0(VALU_DEP_3) | instskip(SKIP_1) | instid1(VALU_DEP_3)
	v_fmamk_f32 v7, v21, 0xbf737871, v18
	v_fmac_f32_e32 v18, 0x3f737871, v21
	v_fmac_f32_e32 v8, 0x3e9e377a, v15
	s_delay_alu instid0(VALU_DEP_3) | instskip(NEXT) | instid1(VALU_DEP_3)
	v_fmac_f32_e32 v7, 0xbf167918, v22
	v_fmac_f32_e32 v18, 0x3f167918, v22
	s_delay_alu instid0(VALU_DEP_3) | instskip(NEXT) | instid1(VALU_DEP_3)
	v_mul_f32_e32 v30, 0xbf167918, v8
	v_fmac_f32_e32 v7, 0x3e9e377a, v16
	s_delay_alu instid0(VALU_DEP_3) | instskip(NEXT) | instid1(VALU_DEP_2)
	v_fmac_f32_e32 v18, 0x3e9e377a, v16
	v_mul_f32_e32 v29, 0x3f167918, v7
	s_delay_alu instid0(VALU_DEP_4) | instskip(NEXT) | instid1(VALU_DEP_2)
	v_dual_fmac_f32 v30, 0x3f4f1bbd, v7 :: v_dual_add_f32 v7, v24, v28
	v_dual_fmac_f32 v29, 0x3f4f1bbd, v8 :: v_dual_add_f32 v8, v9, v19
	s_delay_alu instid0(VALU_DEP_2) | instskip(NEXT) | instid1(VALU_DEP_2)
	v_fma_f32 v37, -0.5, v7, v10
	v_dual_add_f32 v7, v10, v20 :: v_dual_add_f32 v8, v8, v23
	s_delay_alu instid0(VALU_DEP_2) | instskip(NEXT) | instid1(VALU_DEP_2)
	v_fmamk_f32 v75, v67, 0xbf737871, v37
	v_add_f32_e32 v7, v7, v24
	v_fmac_f32_e32 v37, 0x3f737871, v67
	s_delay_alu instid0(VALU_DEP_3) | instskip(NEXT) | instid1(VALU_DEP_3)
	v_dual_add_f32 v8, v8, v27 :: v_dual_fmac_f32 v75, 0xbf167918, v68
	v_add_f32_e32 v7, v7, v28
	s_delay_alu instid0(VALU_DEP_3) | instskip(NEXT) | instid1(VALU_DEP_3)
	v_fmac_f32_e32 v37, 0x3f167918, v68
	v_add_f32_e32 v45, v8, v31
	v_dual_add_f32 v8, v11, v63 :: v_dual_add_f32 v11, v12, v64
	s_delay_alu instid0(VALU_DEP_4) | instskip(NEXT) | instid1(VALU_DEP_4)
	v_dual_add_f32 v76, v7, v32 :: v_dual_fmac_f32 v75, 0x3e9e377a, v14
	v_fmac_f32_e32 v37, 0x3e9e377a, v14
	s_delay_alu instid0(VALU_DEP_3) | instskip(NEXT) | instid1(VALU_DEP_3)
	v_dual_add_f32 v77, v8, v71 :: v_dual_add_f32 v78, v11, v72
	v_dual_add_f32 v11, v56, v29 :: v_dual_add_f32 v12, v75, v30
	s_delay_alu instid0(VALU_DEP_2) | instskip(NEXT) | instid1(VALU_DEP_3)
	v_dual_mul_f32 v14, 0xbf4f1bbd, v18 :: v_dual_add_f32 v7, v45, v77
	v_add_f32_e32 v8, v76, v78
	ds_store_2addr_b64 v79, v[7:8], v[11:12] offset1:3
	v_sub_f32_e32 v12, v23, v19
	v_dual_add_f32 v19, v19, v31 :: v_dual_add_f32 v8, v20, v32
	v_sub_f32_e32 v7, v24, v20
	v_dual_sub_f32 v11, v28, v32 :: v_dual_sub_f32 v20, v27, v31
	s_delay_alu instid0(VALU_DEP_3) | instskip(NEXT) | instid1(VALU_DEP_4)
	v_fma_f32 v9, -0.5, v19, v9
	v_fmac_f32_e32 v10, -0.5, v8
	s_delay_alu instid0(VALU_DEP_3) | instskip(NEXT) | instid1(VALU_DEP_3)
	v_dual_sub_f32 v8, v49, v41 :: v_dual_add_f32 v7, v7, v11
	v_dual_add_f32 v12, v12, v20 :: v_dual_fmamk_f32 v19, v55, 0xbf737871, v9
	v_fmac_f32_e32 v9, 0x3f737871, v55
	s_delay_alu instid0(VALU_DEP_4) | instskip(SKIP_1) | instid1(VALU_DEP_4)
	v_dual_add_f32 v11, v41, v71 :: v_dual_fmamk_f32 v20, v68, 0x3f737871, v10
	v_fmac_f32_e32 v10, 0xbf737871, v68
	v_fmac_f32_e32 v19, 0x3f167918, v46
	s_delay_alu instid0(VALU_DEP_4) | instskip(NEXT) | instid1(VALU_DEP_4)
	v_fmac_f32_e32 v9, 0xbf167918, v46
	v_fmac_f32_e32 v35, -0.5, v11
	v_fmac_f32_e32 v20, 0xbf167918, v67
	v_fmac_f32_e32 v10, 0x3f167918, v67
	;; [unrolled: 1-line block ×3, first 2 shown]
	v_dual_fmac_f32 v9, 0x3e9e377a, v12 :: v_dual_sub_f32 v12, v63, v71
	s_delay_alu instid0(VALU_DEP_4) | instskip(NEXT) | instid1(VALU_DEP_4)
	v_fmac_f32_e32 v20, 0x3e9e377a, v7
	v_dual_fmac_f32 v10, 0x3e9e377a, v7 :: v_dual_sub_f32 v31, v47, v57
	v_sub_f32_e32 v11, v64, v72
	s_delay_alu instid0(VALU_DEP_4) | instskip(SKIP_4) | instid1(VALU_DEP_4)
	v_add_f32_e32 v7, v8, v12
	v_add_f32_e32 v8, v42, v72
	v_fmamk_f32 v12, v26, 0xbf737871, v35
	v_fmac_f32_e32 v35, 0x3f737871, v26
	v_dual_fmac_f32 v17, 0xbf167918, v26 :: v_dual_sub_f32 v26, v48, v61
	v_fmac_f32_e32 v36, -0.5, v8
	v_sub_f32_e32 v8, v50, v42
	v_fmac_f32_e32 v12, 0x3f167918, v25
	v_fmac_f32_e32 v35, 0xbf167918, v25
	;; [unrolled: 1-line block ×3, first 2 shown]
	s_delay_alu instid0(VALU_DEP_3) | instskip(NEXT) | instid1(VALU_DEP_3)
	v_fmac_f32_e32 v12, 0x3e9e377a, v7
	v_fmac_f32_e32 v35, 0x3e9e377a, v7
	v_dual_add_f32 v7, v8, v11 :: v_dual_fmamk_f32 v8, v22, 0x3f737871, v36
	v_fmac_f32_e32 v36, 0xbf737871, v22
	s_delay_alu instid0(VALU_DEP_4) | instskip(NEXT) | instid1(VALU_DEP_4)
	v_mul_f32_e32 v24, 0xbf737871, v12
	v_mul_f32_e32 v27, 0xbe9e377a, v35
	;; [unrolled: 1-line block ×3, first 2 shown]
	v_fmac_f32_e32 v8, 0xbf167918, v21
	v_fmac_f32_e32 v36, 0x3f167918, v21
	;; [unrolled: 1-line block ×3, first 2 shown]
	v_sub_f32_e32 v17, v43, v73
	v_fmac_f32_e32 v13, 0x3f167918, v18
	v_fmac_f32_e32 v8, 0x3e9e377a, v7
	;; [unrolled: 1-line block ×3, first 2 shown]
	s_delay_alu instid0(VALU_DEP_2) | instskip(NEXT) | instid1(VALU_DEP_2)
	v_dual_sub_f32 v18, v51, v65 :: v_dual_mul_f32 v23, 0x3f737871, v8
	v_mul_f32_e32 v28, 0xbe9e377a, v36
	v_fmac_f32_e32 v24, 0x3e9e377a, v8
	v_fmac_f32_e32 v27, 0x3f737871, v36
	s_delay_alu instid0(VALU_DEP_4) | instskip(NEXT) | instid1(VALU_DEP_4)
	v_fmac_f32_e32 v23, 0x3e9e377a, v12
	v_fmac_f32_e32 v28, 0xbf737871, v35
	s_delay_alu instid0(VALU_DEP_3) | instskip(NEXT) | instid1(VALU_DEP_2)
	v_dual_add_f32 v8, v20, v24 :: v_dual_add_f32 v11, v9, v27
	v_dual_add_f32 v7, v19, v23 :: v_dual_add_f32 v12, v10, v28
	ds_store_2addr_b64 v79, v[7:8], v[11:12] offset0:6 offset1:9
	v_dual_sub_f32 v7, v45, v77 :: v_dual_sub_f32 v8, v76, v78
	v_dual_add_f32 v11, v38, v13 :: v_dual_add_f32 v12, v37, v14
	ds_store_2addr_b64 v79, v[11:12], v[7:8] offset0:12 offset1:15
	v_dual_sub_f32 v7, v56, v29 :: v_dual_sub_f32 v8, v75, v30
	v_dual_sub_f32 v11, v19, v23 :: v_dual_sub_f32 v12, v20, v24
	v_sub_f32_e32 v19, v44, v74
	v_sub_f32_e32 v20, v53, v66
	v_dual_sub_f32 v24, v40, v70 :: v_dual_sub_f32 v29, v39, v69
	ds_store_2addr_b64 v79, v[7:8], v[11:12] offset0:18 offset1:21
	v_dual_sub_f32 v8, v10, v28 :: v_dual_sub_f32 v7, v9, v27
	v_dual_sub_f32 v9, v38, v13 :: v_dual_sub_f32 v10, v37, v14
	v_add_f32_e32 v28, v48, v61
	ds_store_2addr_b64 v79, v[7:8], v[9:10] offset0:24 offset1:27
	v_dual_sub_f32 v7, v39, v47 :: v_dual_sub_f32 v8, v69, v57
	v_dual_add_f32 v9, v47, v57 :: v_dual_add_f32 v10, v4, v44
	v_fma_f32 v28, -0.5, v28, v6
	s_delay_alu instid0(VALU_DEP_3) | instskip(SKIP_1) | instid1(VALU_DEP_4)
	v_add_f32_e32 v11, v7, v8
	v_dual_sub_f32 v7, v40, v48 :: v_dual_sub_f32 v8, v70, v61
	v_fma_f32 v23, -0.5, v9, v5
	v_dual_add_f32 v9, v3, v43 :: v_dual_add_f32 v10, v10, v53
	v_fmamk_f32 v30, v29, 0xbf737871, v28
	s_delay_alu instid0(VALU_DEP_4) | instskip(SKIP_3) | instid1(VALU_DEP_3)
	v_add_f32_e32 v12, v7, v8
	v_dual_sub_f32 v7, v43, v51 :: v_dual_sub_f32 v8, v73, v65
	v_fmamk_f32 v25, v24, 0x3f737871, v23
	v_dual_add_f32 v9, v9, v51 :: v_dual_add_f32 v10, v10, v66
	v_dual_fmac_f32 v30, 0xbf167918, v31 :: v_dual_add_f32 v13, v7, v8
	v_dual_sub_f32 v7, v44, v53 :: v_dual_sub_f32 v8, v74, v66
	s_delay_alu instid0(VALU_DEP_4) | instskip(NEXT) | instid1(VALU_DEP_3)
	v_fmac_f32_e32 v25, 0x3f167918, v26
	v_dual_add_f32 v9, v9, v65 :: v_dual_fmac_f32 v30, 0x3e9e377a, v12
	v_fmac_f32_e32 v23, 0xbf737871, v24
	s_delay_alu instid0(VALU_DEP_4) | instskip(SKIP_4) | instid1(VALU_DEP_4)
	v_add_f32_e32 v14, v7, v8
	v_add_f32_e32 v7, v51, v65
	v_fmac_f32_e32 v25, 0x3e9e377a, v11
	v_fmac_f32_e32 v28, 0x3f737871, v29
	;; [unrolled: 1-line block ×3, first 2 shown]
	v_fma_f32 v15, -0.5, v7, v3
	s_delay_alu instid0(VALU_DEP_3) | instskip(NEXT) | instid1(VALU_DEP_3)
	v_dual_add_f32 v7, v53, v66 :: v_dual_fmac_f32 v28, 0x3f167918, v31
	v_fmac_f32_e32 v23, 0x3e9e377a, v11
	s_delay_alu instid0(VALU_DEP_3) | instskip(NEXT) | instid1(VALU_DEP_3)
	v_fmamk_f32 v8, v19, 0x3f737871, v15
	v_fma_f32 v16, -0.5, v7, v4
	v_fmac_f32_e32 v15, 0xbf737871, v19
	v_fmac_f32_e32 v28, 0x3e9e377a, v12
	s_delay_alu instid0(VALU_DEP_4) | instskip(NEXT) | instid1(VALU_DEP_4)
	v_fmac_f32_e32 v8, 0x3f167918, v20
	v_fmamk_f32 v7, v17, 0xbf737871, v16
	v_fmac_f32_e32 v16, 0x3f737871, v17
	v_fmac_f32_e32 v15, 0xbf167918, v20
	s_delay_alu instid0(VALU_DEP_4) | instskip(NEXT) | instid1(VALU_DEP_4)
	v_fmac_f32_e32 v8, 0x3e9e377a, v13
	v_fmac_f32_e32 v7, 0xbf167918, v18
	s_delay_alu instid0(VALU_DEP_4) | instskip(NEXT) | instid1(VALU_DEP_4)
	;; [unrolled: 3-line block ×3, first 2 shown]
	v_mul_f32_e32 v22, 0xbf167918, v8
	v_fmac_f32_e32 v7, 0x3e9e377a, v14
	s_delay_alu instid0(VALU_DEP_4) | instskip(NEXT) | instid1(VALU_DEP_4)
	v_fmac_f32_e32 v16, 0x3e9e377a, v14
	v_mul_f32_e32 v11, 0xbf4f1bbd, v15
	s_delay_alu instid0(VALU_DEP_3) | instskip(SKIP_3) | instid1(VALU_DEP_4)
	v_mul_f32_e32 v21, 0x3f167918, v7
	v_fmac_f32_e32 v22, 0x3f4f1bbd, v7
	v_mad_u16 v7, v33, 30, v34
	v_dual_add_f32 v33, v9, v73 :: v_dual_add_f32 v34, v10, v74
	v_dual_fmac_f32 v21, 0x3f4f1bbd, v8 :: v_dual_add_f32 v8, v5, v39
	s_delay_alu instid0(VALU_DEP_3) | instskip(NEXT) | instid1(VALU_DEP_2)
	v_dual_add_f32 v10, v30, v22 :: v_dual_and_b32 v35, 0xffff, v7
	v_dual_mul_f32 v12, 0xbf4f1bbd, v16 :: v_dual_add_f32 v9, v25, v21
	s_delay_alu instid0(VALU_DEP_3) | instskip(NEXT) | instid1(VALU_DEP_3)
	v_add_f32_e32 v8, v8, v47
	v_lshlrev_b32_e32 v35, 3, v35
	v_fmac_f32_e32 v11, 0x3f167918, v16
	s_delay_alu instid0(VALU_DEP_4) | instskip(NEXT) | instid1(VALU_DEP_3)
	v_fmac_f32_e32 v12, 0xbf167918, v15
	v_dual_add_f32 v8, v8, v57 :: v_dual_mov_b32 v41, v35
	scratch_store_b32 off, v79, off offset:452 ; 4-byte Folded Spill
	v_add_f32_e32 v27, v8, v69
	scratch_store_b32 off, v41, off offset:476 ; 4-byte Folded Spill
	v_dual_add_f32 v8, v6, v40 :: v_dual_add_f32 v7, v27, v33
	s_delay_alu instid0(VALU_DEP_1) | instskip(NEXT) | instid1(VALU_DEP_1)
	v_add_f32_e32 v8, v8, v48
	v_add_f32_e32 v8, v8, v61
	s_delay_alu instid0(VALU_DEP_1) | instskip(NEXT) | instid1(VALU_DEP_1)
	v_add_f32_e32 v32, v8, v70
	v_add_f32_e32 v8, v32, v34
	ds_store_2addr_b64 v35, v[7:8], v[9:10] offset1:3
	v_dual_add_f32 v9, v39, v69 :: v_dual_add_f32 v10, v40, v70
	v_dual_sub_f32 v7, v47, v39 :: v_dual_sub_f32 v8, v57, v69
	v_sub_f32_e32 v35, v61, v70
	s_delay_alu instid0(VALU_DEP_3) | instskip(NEXT) | instid1(VALU_DEP_4)
	v_fma_f32 v5, -0.5, v9, v5
	v_fmac_f32_e32 v6, -0.5, v10
	v_add_f32_e32 v10, v43, v73
	v_add_f32_e32 v7, v7, v8
	s_delay_alu instid0(VALU_DEP_4) | instskip(NEXT) | instid1(VALU_DEP_4)
	v_dual_sub_f32 v8, v48, v40 :: v_dual_fmamk_f32 v9, v26, 0xbf737871, v5
	v_dual_fmac_f32 v5, 0x3f737871, v26 :: v_dual_fmamk_f32 v36, v31, 0x3f737871, v6
	s_delay_alu instid0(VALU_DEP_4) | instskip(NEXT) | instid1(VALU_DEP_3)
	v_dual_fmac_f32 v6, 0xbf737871, v31 :: v_dual_fmac_f32 v3, -0.5, v10
	v_fmac_f32_e32 v9, 0x3f167918, v24
	s_delay_alu instid0(VALU_DEP_3) | instskip(NEXT) | instid1(VALU_DEP_3)
	v_dual_fmac_f32 v5, 0xbf167918, v24 :: v_dual_fmac_f32 v36, 0xbf167918, v29
	v_fmac_f32_e32 v6, 0x3f167918, v29
	s_delay_alu instid0(VALU_DEP_3) | instskip(NEXT) | instid1(VALU_DEP_3)
	v_dual_sub_f32 v10, v66, v74 :: v_dual_fmac_f32 v9, 0x3e9e377a, v7
	v_fmac_f32_e32 v5, 0x3e9e377a, v7
	v_add_f32_e32 v7, v8, v35
	v_dual_sub_f32 v8, v51, v43 :: v_dual_sub_f32 v35, v65, v73
	s_delay_alu instid0(VALU_DEP_2) | instskip(SKIP_1) | instid1(VALU_DEP_3)
	v_fmac_f32_e32 v36, 0x3e9e377a, v7
	v_fmac_f32_e32 v6, 0x3e9e377a, v7
	v_add_f32_e32 v7, v8, v35
	v_add_f32_e32 v8, v44, v74
	v_fmamk_f32 v35, v20, 0xbf737871, v3
	v_fmac_f32_e32 v3, 0x3f737871, v20
	s_delay_alu instid0(VALU_DEP_3) | instskip(NEXT) | instid1(VALU_DEP_3)
	v_fmac_f32_e32 v4, -0.5, v8
	v_dual_sub_f32 v8, v53, v44 :: v_dual_fmac_f32 v35, 0x3f167918, v19
	s_delay_alu instid0(VALU_DEP_3) | instskip(NEXT) | instid1(VALU_DEP_2)
	v_fmac_f32_e32 v3, 0xbf167918, v19
	v_fmac_f32_e32 v35, 0x3e9e377a, v7
	s_delay_alu instid0(VALU_DEP_2) | instskip(NEXT) | instid1(VALU_DEP_4)
	v_fmac_f32_e32 v3, 0x3e9e377a, v7
	v_dual_add_f32 v7, v8, v10 :: v_dual_fmamk_f32 v8, v18, 0x3f737871, v4
	v_fmac_f32_e32 v4, 0xbf737871, v18
	s_delay_alu instid0(VALU_DEP_3) | instskip(NEXT) | instid1(VALU_DEP_3)
	v_mul_f32_e32 v37, 0xbe9e377a, v3
	v_fmac_f32_e32 v8, 0xbf167918, v17
	s_delay_alu instid0(VALU_DEP_3) | instskip(NEXT) | instid1(VALU_DEP_2)
	v_fmac_f32_e32 v4, 0x3f167918, v17
	v_fmac_f32_e32 v8, 0x3e9e377a, v7
	s_delay_alu instid0(VALU_DEP_2) | instskip(NEXT) | instid1(VALU_DEP_2)
	v_fmac_f32_e32 v4, 0x3e9e377a, v7
	v_mul_f32_e32 v10, 0x3f737871, v8
	s_delay_alu instid0(VALU_DEP_2) | instskip(SKIP_1) | instid1(VALU_DEP_3)
	v_mul_f32_e32 v38, 0xbe9e377a, v4
	v_fmac_f32_e32 v37, 0x3f737871, v4
	v_fmac_f32_e32 v10, 0x3e9e377a, v35
	v_mul_f32_e32 v35, 0xbf737871, v35
	s_delay_alu instid0(VALU_DEP_3) | instskip(NEXT) | instid1(VALU_DEP_3)
	v_dual_fmac_f32 v38, 0xbf737871, v3 :: v_dual_add_f32 v7, v5, v37
	v_add_f32_e32 v3, v9, v10
	s_delay_alu instid0(VALU_DEP_2) | instskip(NEXT) | instid1(VALU_DEP_1)
	v_dual_fmac_f32 v35, 0x3e9e377a, v8 :: v_dual_add_f32 v8, v6, v38
	v_add_f32_e32 v4, v36, v35
	ds_store_2addr_b64 v41, v[3:4], v[7:8] offset0:6 offset1:9
	v_dual_sub_f32 v3, v27, v33 :: v_dual_sub_f32 v4, v32, v34
	v_dual_add_f32 v7, v23, v11 :: v_dual_add_f32 v8, v28, v12
	ds_store_2addr_b64 v41, v[7:8], v[3:4] offset0:12 offset1:15
	v_sub_f32_e32 v7, v9, v10
	v_lshrrev_b16 v10, 12, v0
	v_dual_sub_f32 v3, v25, v21 :: v_dual_sub_f32 v4, v30, v22
	v_sub_f32_e32 v8, v36, v35
	s_delay_alu instid0(VALU_DEP_3)
	v_mul_lo_u16 v0, v10, 30
	ds_store_2addr_b64 v41, v[3:4], v[7:8] offset0:18 offset1:21
	v_sub_f32_e32 v3, v5, v37
	v_sub_f32_e32 v5, v23, v11
	v_lshrrev_b16 v11, 12, v2
	v_sub_nc_u16 v0, v181, v0
	v_sub_f32_e32 v4, v6, v38
	v_sub_f32_e32 v6, v28, v12
	s_delay_alu instid0(VALU_DEP_4) | instskip(NEXT) | instid1(VALU_DEP_4)
	v_mul_lo_u16 v2, v11, 30
	v_and_b32_e32 v12, 0xff, v0
	ds_store_2addr_b64 v41, v[3:4], v[5:6] offset0:24 offset1:27
	global_wb scope:SCOPE_SE
	s_wait_storecnt_dscnt 0x0
	v_sub_nc_u16 v2, v62, v2
	v_mad_co_u64_u32 v[6:7], null, 0x48, v12, s[10:11]
	s_barrier_signal -1
	s_barrier_wait -1
	s_delay_alu instid0(VALU_DEP_2)
	v_and_b32_e32 v13, 0xff, v2
	global_inv scope:SCOPE_SE
	ds_load_2addr_b64 v[2:5], v242 offset0:28 offset1:118
	s_clause 0x1
	global_load_b128 v[80:83], v[6:7], off offset:216
	global_load_b128 v[88:91], v[6:7], off offset:232
	v_mad_co_u64_u32 v[8:9], null, 0x48, v13, s[10:11]
	s_clause 0x1
	global_load_b64 v[66:67], v[6:7], off offset:280
	global_load_b128 v[84:87], v[8:9], off offset:216
	s_wait_loadcnt_dscnt 0x300
	v_mul_f32_e32 v0, v3, v83
	v_mul_f32_e32 v15, v2, v83
	s_delay_alu instid0(VALU_DEP_2) | instskip(SKIP_1) | instid1(VALU_DEP_2)
	v_fma_f32 v14, v2, v82, -v0
	s_wait_loadcnt 0x0
	v_dual_fmac_f32 v15, v3, v82 :: v_dual_mul_f32 v0, v5, v87
	v_mul_f32_e32 v17, v4, v87
	s_delay_alu instid0(VALU_DEP_2) | instskip(NEXT) | instid1(VALU_DEP_2)
	v_fma_f32 v16, v4, v86, -v0
	v_fmac_f32_e32 v17, v5, v86
	ds_load_2addr_b64 v[2:5], v210 offset0:56 offset1:146
	s_clause 0x3
	global_load_b128 v[92:95], v[8:9], off offset:232
	global_load_b128 v[104:107], v[8:9], off offset:248
	;; [unrolled: 1-line block ×4, first 2 shown]
	s_wait_dscnt 0x0
	v_mul_f32_e32 v0, v3, v91
	v_mul_f32_e32 v19, v2, v91
	s_delay_alu instid0(VALU_DEP_2) | instskip(SKIP_1) | instid1(VALU_DEP_2)
	v_fma_f32 v18, v2, v90, -v0
	s_wait_loadcnt 0x3
	v_dual_fmac_f32 v19, v3, v90 :: v_dual_mul_f32 v0, v5, v95
	v_mul_f32_e32 v21, v4, v95
	s_delay_alu instid0(VALU_DEP_2) | instskip(NEXT) | instid1(VALU_DEP_2)
	v_fma_f32 v20, v4, v94, -v0
	v_fmac_f32_e32 v21, v5, v94
	ds_load_2addr_b64 v[2:5], v205 offset0:84 offset1:174
	s_wait_loadcnt_dscnt 0x100
	v_mul_f32_e32 v0, v3, v103
	v_mul_f32_e32 v23, v2, v103
	;; [unrolled: 1-line block ×3, first 2 shown]
	s_delay_alu instid0(VALU_DEP_3) | instskip(NEXT) | instid1(VALU_DEP_3)
	v_fma_f32 v22, v2, v102, -v0
	v_dual_mul_f32 v0, v5, v107 :: v_dual_fmac_f32 v23, v3, v102
	s_delay_alu instid0(VALU_DEP_3) | instskip(NEXT) | instid1(VALU_DEP_3)
	v_fmac_f32_e32 v25, v5, v106
	v_sub_f32_e32 v201, v18, v22
	s_delay_alu instid0(VALU_DEP_3)
	v_fma_f32 v24, v4, v106, -v0
	ds_load_2addr_b64 v[2:5], v211 offset0:112 offset1:202
	s_clause 0x1
	global_load_b64 v[70:71], v[8:9], off offset:280
	global_load_b128 v[116:119], v[8:9], off offset:264
	v_dual_mov_b32 v7, v66 :: v_dual_mov_b32 v8, v67
	v_add_f32_e32 v9, v19, v23
	v_sub_f32_e32 v195, v19, v23
	s_wait_loadcnt_dscnt 0x200
	v_mul_f32_e32 v0, v3, v115
	v_mul_f32_e32 v27, v2, v115
	s_delay_alu instid0(VALU_DEP_2) | instskip(NEXT) | instid1(VALU_DEP_2)
	v_fma_f32 v26, v2, v114, -v0
	v_fmac_f32_e32 v27, v3, v114
	s_wait_loadcnt 0x0
	s_delay_alu instid0(VALU_DEP_2) | instskip(SKIP_1) | instid1(VALU_DEP_2)
	v_dual_sub_f32 v199, v14, v26 :: v_dual_mul_f32 v0, v5, v119
	v_mul_f32_e32 v29, v4, v119
	v_fma_f32 v28, v4, v118, -v0
	v_mul_u32_u24_e32 v0, 0x8889, v1
	s_delay_alu instid0(VALU_DEP_3) | instskip(NEXT) | instid1(VALU_DEP_2)
	v_dual_fmac_f32 v29, v5, v118 :: v_dual_sub_f32 v192, v15, v27
	v_lshrrev_b32_e32 v30, 20, v0
	s_delay_alu instid0(VALU_DEP_1) | instskip(NEXT) | instid1(VALU_DEP_1)
	v_mul_lo_u16 v0, v30, 30
	v_sub_nc_u16 v31, v58, v0
	s_delay_alu instid0(VALU_DEP_1) | instskip(NEXT) | instid1(VALU_DEP_1)
	v_mul_lo_u16 v0, 0x48, v31
	v_and_b32_e32 v0, 0xffff, v0
	s_delay_alu instid0(VALU_DEP_1)
	v_add_co_u32 v4, s12, s10, v0
	s_wait_alu 0xf1ff
	v_add_co_ci_u32_e64 v5, null, s11, 0, s12
	ds_load_2addr_b64 v[0:3], v184 offset0:104 offset1:194
	s_clause 0x1
	global_load_b128 v[96:99], v[4:5], off offset:216
	global_load_b128 v[108:111], v[4:5], off offset:232
	s_wait_dscnt 0x0
	v_mul_f32_e32 v6, v1, v85
	v_mul_f32_e32 v33, v0, v85
	s_delay_alu instid0(VALU_DEP_2) | instskip(SKIP_1) | instid1(VALU_DEP_2)
	v_fma_f32 v32, v0, v84, -v6
	s_wait_loadcnt 0x1
	v_dual_fmac_f32 v33, v1, v84 :: v_dual_mul_f32 v0, v3, v97
	v_mul_f32_e32 v35, v2, v97
	s_delay_alu instid0(VALU_DEP_2) | instskip(NEXT) | instid1(VALU_DEP_2)
	v_fma_f32 v34, v2, v96, -v0
	v_fmac_f32_e32 v35, v3, v96
	ds_load_2addr_b64 v[0:3], v208 offset0:80 offset1:170
	s_wait_dscnt 0x0
	v_mul_f32_e32 v6, v3, v89
	v_mul_f32_e32 v37, v2, v89
	;; [unrolled: 1-line block ×3, first 2 shown]
	s_delay_alu instid0(VALU_DEP_3) | instskip(NEXT) | instid1(VALU_DEP_3)
	v_fma_f32 v36, v2, v88, -v6
	v_dual_mul_f32 v2, v1, v99 :: v_dual_fmac_f32 v37, v3, v88
	s_delay_alu instid0(VALU_DEP_3) | instskip(NEXT) | instid1(VALU_DEP_2)
	v_fmac_f32_e32 v39, v1, v98
	v_fma_f32 v38, v0, v98, -v2
	ds_load_2addr_b64 v[0:3], v196 offset0:132 offset1:222
	s_wait_dscnt 0x0
	v_mul_f32_e32 v6, v1, v93
	v_mul_f32_e32 v41, v0, v93
	s_wait_loadcnt 0x0
	v_mul_f32_e32 v43, v2, v109
	s_delay_alu instid0(VALU_DEP_3) | instskip(NEXT) | instid1(VALU_DEP_3)
	v_fma_f32 v40, v0, v92, -v6
	v_dual_mul_f32 v0, v3, v109 :: v_dual_fmac_f32 v41, v1, v92
	s_delay_alu instid0(VALU_DEP_3) | instskip(NEXT) | instid1(VALU_DEP_2)
	v_fmac_f32_e32 v43, v3, v108
	v_fma_f32 v42, v2, v108, -v0
	ds_load_2addr_b64 v[0:3], v206 offset0:108 offset1:198
	s_wait_dscnt 0x0
	v_mul_f32_e32 v6, v3, v101
	v_mul_f32_e32 v45, v2, v101
	;; [unrolled: 1-line block ×3, first 2 shown]
	s_delay_alu instid0(VALU_DEP_3) | instskip(NEXT) | instid1(VALU_DEP_3)
	v_fma_f32 v44, v2, v100, -v6
	v_dual_mul_f32 v2, v1, v111 :: v_dual_fmac_f32 v45, v3, v100
	s_delay_alu instid0(VALU_DEP_3) | instskip(NEXT) | instid1(VALU_DEP_2)
	v_fmac_f32_e32 v47, v1, v110
	v_fma_f32 v46, v0, v110, -v2
	ds_load_2addr_b64 v[0:3], v212 offset0:160 offset1:250
	s_clause 0x1
	global_load_b128 v[120:123], v[4:5], off offset:248
	global_load_b128 v[124:127], v[4:5], off offset:264
	scratch_store_b64 off, v[7:8], off offset:408 ; 8-byte Folded Spill
	s_wait_dscnt 0x0
	v_mul_f32_e32 v6, v1, v105
	v_mul_f32_e32 v49, v0, v105
	s_delay_alu instid0(VALU_DEP_2) | instskip(SKIP_1) | instid1(VALU_DEP_2)
	v_fma_f32 v48, v0, v104, -v6
	s_wait_loadcnt 0x1
	v_dual_fmac_f32 v49, v1, v104 :: v_dual_mul_f32 v0, v3, v121
	v_mul_f32_e32 v51, v2, v121
	s_delay_alu instid0(VALU_DEP_2) | instskip(NEXT) | instid1(VALU_DEP_2)
	v_fma_f32 v50, v2, v120, -v0
	v_fmac_f32_e32 v51, v3, v120
	ds_load_2addr_b64 v[0:3], v214 offset0:8 offset1:98
	s_wait_dscnt 0x0
	v_mul_f32_e32 v6, v3, v113
	v_mul_f32_e32 v55, v2, v113
	;; [unrolled: 1-line block ×3, first 2 shown]
	s_delay_alu instid0(VALU_DEP_3) | instskip(NEXT) | instid1(VALU_DEP_3)
	v_fma_f32 v53, v2, v112, -v6
	v_dual_mul_f32 v2, v1, v123 :: v_dual_fmac_f32 v55, v3, v112
	s_delay_alu instid0(VALU_DEP_3) | instskip(NEXT) | instid1(VALU_DEP_3)
	v_fmac_f32_e32 v57, v1, v122
	v_sub_f32_e32 v179, v44, v53
	s_delay_alu instid0(VALU_DEP_3)
	v_fma_f32 v56, v0, v122, -v2
	ds_load_2addr_b64 v[0:3], v186 offset0:60 offset1:150
	s_wait_dscnt 0x0
	v_mul_f32_e32 v6, v1, v117
	v_mul_f32_e32 v63, v0, v117
	s_wait_loadcnt 0x0
	v_mul_f32_e32 v65, v2, v125
	s_delay_alu instid0(VALU_DEP_3) | instskip(NEXT) | instid1(VALU_DEP_3)
	v_fma_f32 v61, v0, v116, -v6
	v_dual_mul_f32 v0, v3, v125 :: v_dual_fmac_f32 v63, v1, v116
	s_delay_alu instid0(VALU_DEP_3) | instskip(NEXT) | instid1(VALU_DEP_2)
	v_dual_fmac_f32 v65, v3, v124 :: v_dual_sub_f32 v182, v45, v55
	v_fma_f32 v64, v2, v124, -v0
	ds_load_2addr_b64 v[0:3], v215 offset0:36 offset1:126
	s_wait_dscnt 0x0
	v_mul_f32_e32 v6, v3, v8
	v_mul_f32_e32 v67, v2, v8
	;; [unrolled: 1-line block ×3, first 2 shown]
	s_delay_alu instid0(VALU_DEP_3) | instskip(NEXT) | instid1(VALU_DEP_3)
	v_fma_f32 v66, v2, v7, -v6
	v_fmac_f32_e32 v67, v3, v7
	global_load_b64 v[7:8], v[4:5], off offset:280
	v_mul_f32_e32 v2, v1, v127
	v_fmac_f32_e32 v69, v1, v126
	v_dual_mov_b32 v5, v70 :: v_dual_mov_b32 v6, v71
	v_sub_f32_e32 v180, v37, v67
	s_delay_alu instid0(VALU_DEP_4)
	v_fma_f32 v68, v0, v126, -v2
	ds_load_2addr_b64 v[0:3], v185 offset0:88 offset1:178
	v_sub_f32_e32 v178, v36, v66
	scratch_store_b64 off, v[5:6], off offset:424 ; 8-byte Folded Spill
	s_wait_dscnt 0x0
	v_mul_f32_e32 v4, v1, v6
	v_mul_f32_e32 v71, v0, v6
	s_delay_alu instid0(VALU_DEP_2) | instskip(NEXT) | instid1(VALU_DEP_2)
	v_fma_f32 v70, v0, v5, -v4
	v_fmac_f32_e32 v71, v1, v5
	s_wait_loadcnt 0x0
	v_dual_sub_f32 v1, v26, v22 :: v_dual_mul_f32 v0, v3, v8
	v_mul_f32_e32 v73, v2, v8
	scratch_store_b64 off, v[7:8], off offset:416 ; 8-byte Folded Spill
	v_fma_f32 v72, v2, v7, -v0
	v_dual_sub_f32 v0, v14, v18 :: v_dual_fmac_f32 v73, v3, v7
	s_delay_alu instid0(VALU_DEP_1) | instskip(SKIP_2) | instid1(VALU_DEP_1)
	v_add_f32_e32 v74, v0, v1
	v_sub_f32_e32 v0, v15, v19
	v_sub_f32_e32 v1, v27, v23
	v_add_f32_e32 v75, v0, v1
	v_dual_sub_f32 v0, v36, v44 :: v_dual_sub_f32 v1, v66, v53
	s_delay_alu instid0(VALU_DEP_1) | instskip(SKIP_1) | instid1(VALU_DEP_1)
	v_add_f32_e32 v76, v0, v1
	v_dual_sub_f32 v0, v37, v45 :: v_dual_sub_f32 v1, v67, v55
	v_add_f32_e32 v77, v0, v1
	ds_load_2addr_b64 v[0:3], v207 offset0:52 offset1:142
	s_wait_dscnt 0x0
	v_mul_f32_e32 v4, v3, v81
	v_mul_f32_e32 v79, v2, v81
	s_delay_alu instid0(VALU_DEP_2) | instskip(NEXT) | instid1(VALU_DEP_2)
	v_fma_f32 v78, v2, v80, -v4
	v_dual_add_f32 v2, v44, v53 :: v_dual_fmac_f32 v79, v3, v80
	s_delay_alu instid0(VALU_DEP_2) | instskip(NEXT) | instid1(VALU_DEP_2)
	v_add_f32_e32 v7, v78, v36
	v_fma_f32 v176, -0.5, v2, v78
	v_add_f32_e32 v2, v45, v55
	s_delay_alu instid0(VALU_DEP_4) | instskip(NEXT) | instid1(VALU_DEP_4)
	v_add_f32_e32 v8, v79, v37
	v_add_f32_e32 v7, v7, v44
	s_delay_alu instid0(VALU_DEP_4) | instskip(NEXT) | instid1(VALU_DEP_4)
	v_fmamk_f32 v3, v180, 0x3f737871, v176
	v_fma_f32 v177, -0.5, v2, v79
	s_delay_alu instid0(VALU_DEP_4) | instskip(NEXT) | instid1(VALU_DEP_4)
	v_add_f32_e32 v8, v8, v45
	v_dual_fmac_f32 v176, 0xbf737871, v180 :: v_dual_add_f32 v7, v7, v53
	s_delay_alu instid0(VALU_DEP_4) | instskip(NEXT) | instid1(VALU_DEP_4)
	v_fmac_f32_e32 v3, 0x3f167918, v182
	v_fmamk_f32 v2, v178, 0xbf737871, v177
	s_delay_alu instid0(VALU_DEP_4) | instskip(NEXT) | instid1(VALU_DEP_4)
	v_dual_add_f32 v8, v8, v55 :: v_dual_fmac_f32 v177, 0x3f737871, v178
	v_add_f32_e32 v203, v7, v66
	s_delay_alu instid0(VALU_DEP_4) | instskip(NEXT) | instid1(VALU_DEP_4)
	v_fmac_f32_e32 v3, 0x3e9e377a, v76
	v_fmac_f32_e32 v2, 0xbf167918, v179
	s_delay_alu instid0(VALU_DEP_4) | instskip(SKIP_4) | instid1(VALU_DEP_3)
	v_add_f32_e32 v204, v8, v67
	v_fmac_f32_e32 v176, 0xbf167918, v182
	v_fmac_f32_e32 v177, 0x3f167918, v179
	v_mul_f32_e32 v191, 0xbf167918, v3
	v_fmac_f32_e32 v2, 0x3e9e377a, v77
	v_dual_fmac_f32 v176, 0x3e9e377a, v76 :: v_dual_fmac_f32 v177, 0x3e9e377a, v77
	s_delay_alu instid0(VALU_DEP_2) | instskip(NEXT) | instid1(VALU_DEP_4)
	v_mul_f32_e32 v183, 0x3f167918, v2
	v_fmac_f32_e32 v191, 0x3f4f1bbd, v2
	v_and_b32_e32 v2, 0xffff, v10
	s_delay_alu instid0(VALU_DEP_3) | instskip(NEXT) | instid1(VALU_DEP_2)
	v_fmac_f32_e32 v183, 0x3f4f1bbd, v3
	v_mul_u32_u24_e32 v2, 0x12c, v2
	s_delay_alu instid0(VALU_DEP_1)
	v_add_lshl_u32 v187, v2, v12, 3
	ds_load_2addr_b64 v[2:5], v250 offset1:90
	global_wb scope:SCOPE_SE
	s_wait_storecnt_dscnt 0x0
	s_barrier_signal -1
	s_barrier_wait -1
	global_inv scope:SCOPE_SE
	v_add_f32_e32 v6, v2, v14
	v_fma_f32 v198, -0.5, v9, v3
	s_delay_alu instid0(VALU_DEP_2) | instskip(NEXT) | instid1(VALU_DEP_2)
	v_add_f32_e32 v6, v6, v18
	v_fmamk_f32 v200, v199, 0xbf737871, v198
	v_fmac_f32_e32 v198, 0x3f737871, v199
	s_delay_alu instid0(VALU_DEP_3) | instskip(NEXT) | instid1(VALU_DEP_3)
	v_add_f32_e32 v6, v6, v22
	v_fmac_f32_e32 v200, 0xbf167918, v201
	s_delay_alu instid0(VALU_DEP_3) | instskip(NEXT) | instid1(VALU_DEP_3)
	v_fmac_f32_e32 v198, 0x3f167918, v201
	v_add_f32_e32 v10, v6, v26
	v_add_f32_e32 v6, v18, v22
	s_delay_alu instid0(VALU_DEP_4) | instskip(NEXT) | instid1(VALU_DEP_4)
	v_fmac_f32_e32 v200, 0x3e9e377a, v75
	v_fmac_f32_e32 v198, 0x3e9e377a, v75
	s_delay_alu instid0(VALU_DEP_3) | instskip(SKIP_1) | instid1(VALU_DEP_4)
	v_fma_f32 v12, -0.5, v6, v2
	v_add_f32_e32 v6, v3, v15
	v_add_f32_e32 v9, v200, v191
	s_delay_alu instid0(VALU_DEP_3) | instskip(NEXT) | instid1(VALU_DEP_3)
	v_fmamk_f32 v194, v192, 0x3f737871, v12
	v_add_f32_e32 v6, v6, v19
	v_fmac_f32_e32 v12, 0xbf737871, v192
	s_delay_alu instid0(VALU_DEP_3) | instskip(NEXT) | instid1(VALU_DEP_3)
	v_fmac_f32_e32 v194, 0x3f167918, v195
	v_add_f32_e32 v6, v6, v23
	s_delay_alu instid0(VALU_DEP_3) | instskip(NEXT) | instid1(VALU_DEP_3)
	v_fmac_f32_e32 v12, 0xbf167918, v195
	v_fmac_f32_e32 v194, 0x3e9e377a, v74
	s_delay_alu instid0(VALU_DEP_3) | instskip(SKIP_1) | instid1(VALU_DEP_4)
	v_add_f32_e32 v202, v6, v27
	v_add_f32_e32 v6, v10, v203
	v_fmac_f32_e32 v12, 0x3e9e377a, v74
	s_delay_alu instid0(VALU_DEP_4) | instskip(NEXT) | instid1(VALU_DEP_4)
	v_add_f32_e32 v8, v194, v183
	v_add_f32_e32 v7, v202, v204
	ds_store_2addr_b64 v187, v[6:7], v[8:9] offset1:30
	v_add_f32_e32 v8, v14, v26
	v_sub_f32_e32 v6, v18, v14
	v_sub_f32_e32 v7, v22, v26
	v_add_f32_e32 v14, v36, v66
	v_mul_f32_e32 v26, 0xbf4f1bbd, v177
	v_fma_f32 v8, -0.5, v8, v2
	v_sub_f32_e32 v2, v19, v15
	v_add_f32_e32 v6, v6, v7
	v_dual_add_f32 v7, v15, v27 :: v_dual_fmac_f32 v78, -0.5, v14
	s_delay_alu instid0(VALU_DEP_4) | instskip(SKIP_1) | instid1(VALU_DEP_3)
	v_fmamk_f32 v9, v195, 0xbf737871, v8
	v_dual_fmac_f32 v8, 0x3f737871, v195 :: v_dual_sub_f32 v15, v53, v66
	v_fma_f32 v18, -0.5, v7, v3
	v_add_f32_e32 v3, v37, v67
	s_delay_alu instid0(VALU_DEP_4) | instskip(NEXT) | instid1(VALU_DEP_4)
	v_fmac_f32_e32 v9, 0x3f167918, v192
	v_fmac_f32_e32 v8, 0xbf167918, v192
	v_fmamk_f32 v7, v182, 0xbf737871, v78
	v_fmamk_f32 v19, v201, 0x3f737871, v18
	v_fmac_f32_e32 v18, 0xbf737871, v201
	v_fmac_f32_e32 v9, 0x3e9e377a, v6
	;; [unrolled: 1-line block ×3, first 2 shown]
	v_sub_f32_e32 v6, v23, v27
	v_fmac_f32_e32 v19, 0xbf167918, v199
	v_fmac_f32_e32 v18, 0x3f167918, v199
	v_dual_fmac_f32 v78, 0x3f737871, v182 :: v_dual_fmac_f32 v79, -0.5, v3
	s_delay_alu instid0(VALU_DEP_4) | instskip(SKIP_2) | instid1(VALU_DEP_4)
	v_add_f32_e32 v2, v2, v6
	v_dual_sub_f32 v6, v44, v36 :: v_dual_sub_f32 v3, v45, v37
	v_fmac_f32_e32 v7, 0x3f167918, v180
	v_fmac_f32_e32 v78, 0xbf167918, v180
	s_delay_alu instid0(VALU_DEP_4)
	v_fmac_f32_e32 v19, 0x3e9e377a, v2
	v_fmac_f32_e32 v18, 0x3e9e377a, v2
	v_sub_f32_e32 v36, v17, v29
	v_add_f32_e32 v2, v6, v15
	v_dual_sub_f32 v6, v55, v67 :: v_dual_sub_f32 v53, v16, v28
	v_sub_f32_e32 v44, v21, v25
	s_delay_alu instid0(VALU_DEP_3) | instskip(SKIP_1) | instid1(VALU_DEP_4)
	v_dual_sub_f32 v66, v20, v24 :: v_dual_fmac_f32 v7, 0x3e9e377a, v2
	v_fmac_f32_e32 v78, 0x3e9e377a, v2
	v_add_f32_e32 v2, v3, v6
	v_fmamk_f32 v3, v179, 0x3f737871, v79
	v_fmac_f32_e32 v79, 0xbf737871, v179
	v_mul_f32_e32 v15, 0xbf737871, v7
	v_mul_f32_e32 v22, 0xbe9e377a, v78
	s_delay_alu instid0(VALU_DEP_4) | instskip(NEXT) | instid1(VALU_DEP_4)
	v_dual_fmac_f32 v26, 0xbf167918, v176 :: v_dual_fmac_f32 v3, 0xbf167918, v178
	v_fmac_f32_e32 v79, 0x3f167918, v178
	v_mov_b32_e32 v195, v207
	s_delay_alu instid0(VALU_DEP_3) | instskip(NEXT) | instid1(VALU_DEP_3)
	v_fmac_f32_e32 v3, 0x3e9e377a, v2
	v_fmac_f32_e32 v79, 0x3e9e377a, v2
	s_delay_alu instid0(VALU_DEP_2) | instskip(NEXT) | instid1(VALU_DEP_2)
	v_mul_f32_e32 v14, 0x3f737871, v3
	v_mul_f32_e32 v23, 0xbe9e377a, v79
	v_fmac_f32_e32 v15, 0x3e9e377a, v3
	v_fmac_f32_e32 v22, 0x3f737871, v79
	s_delay_alu instid0(VALU_DEP_4) | instskip(NEXT) | instid1(VALU_DEP_4)
	v_fmac_f32_e32 v14, 0x3e9e377a, v7
	v_fmac_f32_e32 v23, 0xbf737871, v78
	s_delay_alu instid0(VALU_DEP_3) | instskip(NEXT) | instid1(VALU_DEP_2)
	v_dual_add_f32 v3, v19, v15 :: v_dual_add_f32 v6, v8, v22
	v_dual_add_f32 v2, v9, v14 :: v_dual_add_f32 v7, v18, v23
	ds_store_2addr_b64 v187, v[2:3], v[6:7] offset0:60 offset1:90
	v_sub_f32_e32 v2, v10, v203
	v_mul_f32_e32 v10, 0xbf4f1bbd, v176
	v_sub_f32_e32 v3, v202, v204
	s_delay_alu instid0(VALU_DEP_2) | instskip(NEXT) | instid1(VALU_DEP_1)
	v_dual_add_f32 v7, v198, v26 :: v_dual_fmac_f32 v10, 0x3f167918, v177
	v_add_f32_e32 v6, v12, v10
	ds_store_2addr_b64 v187, v[6:7], v[2:3] offset0:120 offset1:150
	v_sub_f32_e32 v2, v194, v183
	v_dual_sub_f32 v3, v200, v191 :: v_dual_sub_f32 v6, v9, v14
	v_sub_f32_e32 v7, v19, v15
	v_sub_f32_e32 v19, v48, v61
	v_dual_mov_b32 v191, v214 :: v_dual_lshlrev_b32 v194, 4, v209
	ds_store_2addr_b64 v187, v[2:3], v[6:7] offset0:180 offset1:210
	v_dual_sub_f32 v2, v8, v22 :: v_dual_sub_f32 v3, v18, v23
	v_sub_f32_e32 v6, v12, v10
	v_dual_sub_f32 v7, v198, v26 :: v_dual_add_nc_u32 v8, 0x400, v187
	v_sub_f32_e32 v22, v41, v71
	v_dual_sub_f32 v18, v40, v70 :: v_dual_sub_f32 v23, v49, v63
	ds_store_2addr_b64 v8, v[2:3], v[6:7] offset0:112 offset1:142
	v_sub_f32_e32 v2, v16, v20
	v_sub_f32_e32 v3, v28, v24
	scratch_store_b32 off, v8, off offset:280 ; 4-byte Folded Spill
	v_add_f32_e32 v7, v21, v25
	v_add_f32_e32 v6, v33, v41
	;; [unrolled: 1-line block ×3, first 2 shown]
	v_sub_f32_e32 v2, v17, v21
	v_sub_f32_e32 v3, v29, v25
	v_fma_f32 v45, -0.5, v7, v5
	v_add_f32_e32 v6, v6, v49
	s_delay_alu instid0(VALU_DEP_3) | instskip(SKIP_1) | instid1(VALU_DEP_3)
	v_dual_add_f32 v9, v2, v3 :: v_dual_sub_f32 v2, v40, v48
	v_sub_f32_e32 v3, v70, v61
	v_dual_fmamk_f32 v55, v53, 0xbf737871, v45 :: v_dual_add_f32 v6, v6, v63
	s_delay_alu instid0(VALU_DEP_2) | instskip(SKIP_1) | instid1(VALU_DEP_3)
	v_dual_fmac_f32 v45, 0x3f737871, v53 :: v_dual_add_f32 v10, v2, v3
	v_dual_sub_f32 v2, v41, v49 :: v_dual_sub_f32 v3, v71, v63
	v_fmac_f32_e32 v55, 0xbf167918, v66
	s_delay_alu instid0(VALU_DEP_4) | instskip(NEXT) | instid1(VALU_DEP_3)
	v_add_f32_e32 v75, v6, v71
	v_dual_fmac_f32 v45, 0x3f167918, v66 :: v_dual_add_f32 v12, v2, v3
	v_add_f32_e32 v2, v48, v61
	s_delay_alu instid0(VALU_DEP_4) | instskip(NEXT) | instid1(VALU_DEP_3)
	v_fmac_f32_e32 v55, 0x3e9e377a, v9
	v_fmac_f32_e32 v45, 0x3e9e377a, v9
	s_delay_alu instid0(VALU_DEP_3) | instskip(NEXT) | instid1(VALU_DEP_1)
	v_fma_f32 v14, -0.5, v2, v32
	v_dual_add_f32 v2, v49, v63 :: v_dual_fmamk_f32 v3, v22, 0x3f737871, v14
	s_delay_alu instid0(VALU_DEP_1) | instskip(SKIP_1) | instid1(VALU_DEP_3)
	v_fma_f32 v15, -0.5, v2, v33
	v_fmac_f32_e32 v14, 0xbf737871, v22
	v_fmac_f32_e32 v3, 0x3f167918, v23
	s_delay_alu instid0(VALU_DEP_3) | instskip(SKIP_1) | instid1(VALU_DEP_4)
	v_fmamk_f32 v2, v18, 0xbf737871, v15
	v_fmac_f32_e32 v15, 0x3f737871, v18
	v_fmac_f32_e32 v14, 0xbf167918, v23
	s_delay_alu instid0(VALU_DEP_4) | instskip(NEXT) | instid1(VALU_DEP_4)
	v_fmac_f32_e32 v3, 0x3e9e377a, v10
	v_fmac_f32_e32 v2, 0xbf167918, v19
	s_delay_alu instid0(VALU_DEP_4) | instskip(NEXT) | instid1(VALU_DEP_4)
	;; [unrolled: 3-line block ×3, first 2 shown]
	v_mul_f32_e32 v27, 0xbf167918, v3
	v_fmac_f32_e32 v2, 0x3e9e377a, v12
	s_delay_alu instid0(VALU_DEP_4) | instskip(SKIP_1) | instid1(VALU_DEP_3)
	v_fmac_f32_e32 v15, 0x3e9e377a, v12
	v_sub_f32_e32 v12, v42, v72
	v_mul_f32_e32 v26, 0x3f167918, v2
	v_fmac_f32_e32 v27, 0x3f4f1bbd, v2
	v_and_b32_e32 v2, 0xffff, v11
	v_mul_f32_e32 v9, 0xbf4f1bbd, v15
	s_delay_alu instid0(VALU_DEP_4) | instskip(NEXT) | instid1(VALU_DEP_3)
	v_dual_fmac_f32 v26, 0x3f4f1bbd, v3 :: v_dual_add_f32 v3, v32, v40
	v_mul_u32_u24_e32 v2, 0x12c, v2
	v_add_f32_e32 v7, v55, v27
	s_delay_alu instid0(VALU_DEP_4) | instskip(NEXT) | instid1(VALU_DEP_4)
	v_fmac_f32_e32 v9, 0xbf167918, v14
	v_add_f32_e32 v3, v3, v48
	s_delay_alu instid0(VALU_DEP_4) | instskip(NEXT) | instid1(VALU_DEP_2)
	v_add_lshl_u32 v76, v2, v13, 3
	v_dual_add_f32 v2, v4, v16 :: v_dual_add_f32 v3, v3, v61
	s_delay_alu instid0(VALU_DEP_1) | instskip(NEXT) | instid1(VALU_DEP_2)
	v_add_f32_e32 v2, v2, v20
	v_add_f32_e32 v74, v3, v70
	s_delay_alu instid0(VALU_DEP_2) | instskip(NEXT) | instid1(VALU_DEP_1)
	v_add_f32_e32 v2, v2, v24
	v_add_f32_e32 v11, v2, v28
	;; [unrolled: 1-line block ×3, first 2 shown]
	s_delay_alu instid0(VALU_DEP_1) | instskip(NEXT) | instid1(VALU_DEP_1)
	v_fma_f32 v13, -0.5, v2, v4
	v_dual_add_f32 v2, v5, v17 :: v_dual_fmamk_f32 v37, v36, 0x3f737871, v13
	s_delay_alu instid0(VALU_DEP_1) | instskip(NEXT) | instid1(VALU_DEP_1)
	v_dual_add_f32 v2, v2, v21 :: v_dual_fmac_f32 v13, 0xbf737871, v36
	v_dual_fmac_f32 v37, 0x3f167918, v44 :: v_dual_add_f32 v2, v2, v25
	s_delay_alu instid0(VALU_DEP_2) | instskip(NEXT) | instid1(VALU_DEP_2)
	v_fmac_f32_e32 v13, 0xbf167918, v44
	v_fmac_f32_e32 v37, 0x3e9e377a, v8
	s_delay_alu instid0(VALU_DEP_3) | instskip(NEXT) | instid1(VALU_DEP_3)
	v_dual_add_f32 v67, v2, v29 :: v_dual_add_f32 v2, v11, v74
	v_fmac_f32_e32 v13, 0x3e9e377a, v8
	v_mul_f32_e32 v8, 0xbf4f1bbd, v14
	s_delay_alu instid0(VALU_DEP_3) | instskip(SKIP_1) | instid1(VALU_DEP_3)
	v_dual_add_f32 v6, v37, v26 :: v_dual_add_f32 v3, v67, v75
	v_sub_f32_e32 v14, v43, v73
	v_dual_fmac_f32 v8, 0x3f167918, v15 :: v_dual_sub_f32 v15, v51, v65
	ds_store_2addr_b64 v76, v[2:3], v[6:7] offset1:30
	v_add_f32_e32 v6, v16, v28
	v_sub_f32_e32 v2, v20, v16
	v_sub_f32_e32 v3, v24, v28
	v_add_f32_e32 v7, v17, v29
	v_sub_f32_e32 v16, v25, v29
	v_fma_f32 v4, -0.5, v6, v4
	v_add_f32_e32 v6, v40, v70
	v_dual_add_f32 v2, v2, v3 :: v_dual_sub_f32 v3, v21, v17
	v_fmac_f32_e32 v5, -0.5, v7
	s_delay_alu instid0(VALU_DEP_4) | instskip(SKIP_2) | instid1(VALU_DEP_3)
	v_fmamk_f32 v17, v44, 0xbf737871, v4
	v_dual_fmac_f32 v4, 0x3f737871, v44 :: v_dual_sub_f32 v7, v61, v70
	v_fmac_f32_e32 v32, -0.5, v6
	v_dual_sub_f32 v6, v63, v71 :: v_dual_fmac_f32 v17, 0x3f167918, v36
	s_delay_alu instid0(VALU_DEP_3) | instskip(NEXT) | instid1(VALU_DEP_2)
	v_fmac_f32_e32 v4, 0xbf167918, v36
	v_fmac_f32_e32 v17, 0x3e9e377a, v2
	s_delay_alu instid0(VALU_DEP_2) | instskip(SKIP_4) | instid1(VALU_DEP_3)
	v_fmac_f32_e32 v4, 0x3e9e377a, v2
	v_add_f32_e32 v2, v3, v16
	v_fmamk_f32 v16, v66, 0x3f737871, v5
	v_fmac_f32_e32 v5, 0xbf737871, v66
	v_dual_sub_f32 v3, v48, v40 :: v_dual_lshlrev_b32 v48, 4, v62
	v_fmac_f32_e32 v16, 0xbf167918, v53
	s_delay_alu instid0(VALU_DEP_3) | instskip(SKIP_1) | instid1(VALU_DEP_3)
	v_fmac_f32_e32 v5, 0x3f167918, v53
	v_lshlrev_b32_e32 v53, 4, v58
	v_fmac_f32_e32 v16, 0x3e9e377a, v2
	s_delay_alu instid0(VALU_DEP_3) | instskip(SKIP_3) | instid1(VALU_DEP_3)
	v_dual_fmac_f32 v5, 0x3e9e377a, v2 :: v_dual_add_f32 v2, v3, v7
	v_add_f32_e32 v3, v41, v71
	v_fmamk_f32 v7, v23, 0xbf737871, v32
	v_dual_fmac_f32 v32, 0x3f737871, v23 :: v_dual_sub_f32 v23, v47, v57
	v_fmac_f32_e32 v33, -0.5, v3
	v_sub_f32_e32 v3, v49, v41
	s_delay_alu instid0(VALU_DEP_4) | instskip(NEXT) | instid1(VALU_DEP_4)
	v_fmac_f32_e32 v7, 0x3f167918, v22
	v_fmac_f32_e32 v32, 0xbf167918, v22
	s_delay_alu instid0(VALU_DEP_2) | instskip(NEXT) | instid1(VALU_DEP_2)
	v_dual_sub_f32 v22, v39, v69 :: v_dual_fmac_f32 v7, 0x3e9e377a, v2
	v_fmac_f32_e32 v32, 0x3e9e377a, v2
	v_add_f32_e32 v2, v3, v6
	v_fmamk_f32 v3, v19, 0x3f737871, v33
	v_fmac_f32_e32 v33, 0xbf737871, v19
	v_mul_f32_e32 v21, 0xbf737871, v7
	v_dual_mul_f32 v24, 0xbe9e377a, v32 :: v_dual_add_f32 v19, v35, v43
	s_delay_alu instid0(VALU_DEP_4) | instskip(NEXT) | instid1(VALU_DEP_4)
	v_fmac_f32_e32 v3, 0xbf167918, v18
	v_fmac_f32_e32 v33, 0x3f167918, v18
	s_delay_alu instid0(VALU_DEP_3) | instskip(NEXT) | instid1(VALU_DEP_3)
	v_add_f32_e32 v19, v19, v51
	v_fmac_f32_e32 v3, 0x3e9e377a, v2
	s_delay_alu instid0(VALU_DEP_3) | instskip(NEXT) | instid1(VALU_DEP_2)
	v_fmac_f32_e32 v33, 0x3e9e377a, v2
	v_dual_add_f32 v19, v19, v65 :: v_dual_mul_f32 v20, 0x3f737871, v3
	s_delay_alu instid0(VALU_DEP_2) | instskip(SKIP_2) | instid1(VALU_DEP_4)
	v_mul_f32_e32 v25, 0xbe9e377a, v33
	v_fmac_f32_e32 v21, 0x3e9e377a, v3
	v_fmac_f32_e32 v24, 0x3f737871, v33
	v_dual_add_f32 v19, v19, v73 :: v_dual_fmac_f32 v20, 0x3e9e377a, v7
	s_delay_alu instid0(VALU_DEP_4) | instskip(NEXT) | instid1(VALU_DEP_4)
	v_fmac_f32_e32 v25, 0xbf737871, v32
	v_add_f32_e32 v3, v16, v21
	s_delay_alu instid0(VALU_DEP_4)
	v_add_f32_e32 v6, v4, v24
	v_add_f32_e32 v32, v43, v73
	;; [unrolled: 1-line block ×4, first 2 shown]
	v_sub_f32_e32 v33, v65, v73
	ds_store_2addr_b64 v76, v[2:3], v[6:7] offset0:60 offset1:90
	v_sub_f32_e32 v2, v11, v74
	v_dual_sub_f32 v3, v67, v75 :: v_dual_add_f32 v6, v13, v8
	v_add_f32_e32 v7, v45, v9
	ds_store_2addr_b64 v76, v[6:7], v[2:3] offset0:120 offset1:150
	v_dual_sub_f32 v2, v37, v26 :: v_dual_sub_f32 v3, v55, v27
	v_dual_sub_f32 v6, v17, v20 :: v_dual_sub_f32 v7, v16, v21
	v_add_f32_e32 v20, v46, v56
	v_sub_f32_e32 v26, v46, v56
	ds_store_2addr_b64 v76, v[2:3], v[6:7] offset0:180 offset1:210
	v_dual_sub_f32 v3, v5, v25 :: v_dual_sub_f32 v2, v4, v24
	v_sub_f32_e32 v4, v13, v8
	v_dual_sub_f32 v5, v45, v9 :: v_dual_add_nc_u32 v6, 0x400, v76
	scratch_store_b32 off, v76, off offset:472 ; 4-byte Folded Spill
	v_sub_f32_e32 v13, v50, v64
	v_fma_f32 v20, -0.5, v20, v0
	v_sub_f32_e32 v25, v38, v68
	scratch_store_b32 off, v6, off offset:272 ; 4-byte Folded Spill
	ds_store_2addr_b64 v6, v[2:3], v[4:5] offset0:112 offset1:142
	v_dual_sub_f32 v2, v38, v46 :: v_dual_sub_f32 v3, v68, v56
	v_dual_add_f32 v4, v1, v39 :: v_dual_add_f32 v5, v34, v42
	v_fmamk_f32 v24, v22, 0x3f737871, v20
	v_fmac_f32_e32 v20, 0xbf737871, v22
	s_delay_alu instid0(VALU_DEP_4) | instskip(SKIP_4) | instid1(VALU_DEP_4)
	v_add_f32_e32 v6, v2, v3
	v_dual_sub_f32 v2, v39, v47 :: v_dual_sub_f32 v3, v69, v57
	v_dual_add_f32 v4, v4, v47 :: v_dual_add_f32 v5, v5, v50
	v_fmac_f32_e32 v24, 0x3f167918, v23
	v_fmac_f32_e32 v20, 0xbf167918, v23
	v_add_f32_e32 v7, v2, v3
	v_dual_sub_f32 v2, v42, v50 :: v_dual_sub_f32 v3, v72, v64
	v_dual_add_f32 v4, v4, v57 :: v_dual_add_f32 v5, v5, v64
	v_fmac_f32_e32 v24, 0x3e9e377a, v6
	v_fmac_f32_e32 v20, 0x3e9e377a, v6
	s_delay_alu instid0(VALU_DEP_4) | instskip(SKIP_2) | instid1(VALU_DEP_2)
	v_add_f32_e32 v8, v2, v3
	v_dual_sub_f32 v2, v43, v51 :: v_dual_sub_f32 v3, v73, v65
	v_dual_add_f32 v28, v4, v69 :: v_dual_add_f32 v29, v5, v72
	v_add_f32_e32 v9, v2, v3
	v_add_f32_e32 v2, v50, v64
	s_delay_alu instid0(VALU_DEP_1) | instskip(NEXT) | instid1(VALU_DEP_1)
	v_fma_f32 v10, -0.5, v2, v34
	v_dual_add_f32 v2, v51, v65 :: v_dual_fmamk_f32 v3, v14, 0x3f737871, v10
	s_delay_alu instid0(VALU_DEP_1) | instskip(SKIP_1) | instid1(VALU_DEP_3)
	v_fma_f32 v11, -0.5, v2, v35
	v_dual_fmac_f32 v35, -0.5, v32 :: v_dual_fmac_f32 v10, 0xbf737871, v14
	v_fmac_f32_e32 v3, 0x3f167918, v15
	s_delay_alu instid0(VALU_DEP_3) | instskip(SKIP_1) | instid1(VALU_DEP_4)
	v_fmamk_f32 v2, v12, 0xbf737871, v11
	v_fmac_f32_e32 v11, 0x3f737871, v12
	v_fmac_f32_e32 v10, 0xbf167918, v15
	s_delay_alu instid0(VALU_DEP_4) | instskip(NEXT) | instid1(VALU_DEP_4)
	v_fmac_f32_e32 v3, 0x3e9e377a, v8
	v_fmac_f32_e32 v2, 0xbf167918, v13
	s_delay_alu instid0(VALU_DEP_4) | instskip(NEXT) | instid1(VALU_DEP_4)
	;; [unrolled: 3-line block ×3, first 2 shown]
	v_mul_f32_e32 v17, 0xbf167918, v3
	v_fmac_f32_e32 v2, 0x3e9e377a, v9
	s_delay_alu instid0(VALU_DEP_4) | instskip(NEXT) | instid1(VALU_DEP_4)
	v_fmac_f32_e32 v11, 0x3e9e377a, v9
	v_mul_f32_e32 v6, 0xbf4f1bbd, v10
	s_delay_alu instid0(VALU_DEP_3)
	v_mul_f32_e32 v16, 0x3f167918, v2
	v_fmac_f32_e32 v17, 0x3f4f1bbd, v2
	v_mad_u16 v2, 0x12c, v30, v31
	v_sub_f32_e32 v31, v51, v43
	v_fmac_f32_e32 v6, 0x3f167918, v11
	v_dual_fmac_f32 v16, 0x3f4f1bbd, v3 :: v_dual_add_f32 v3, v47, v57
	s_delay_alu instid0(VALU_DEP_4) | instskip(NEXT) | instid1(VALU_DEP_2)
	v_dual_mov_b32 v51, v211 :: v_dual_and_b32 v30, 0xffff, v2
	v_add_f32_e32 v4, v24, v16
	s_delay_alu instid0(VALU_DEP_3) | instskip(SKIP_1) | instid1(VALU_DEP_2)
	v_fma_f32 v18, -0.5, v3, v1
	v_add_f32_e32 v3, v0, v38
	v_dual_fmamk_f32 v27, v25, 0xbf737871, v18 :: v_dual_lshlrev_b32 v30, 3, v30
	s_delay_alu instid0(VALU_DEP_2) | instskip(NEXT) | instid1(VALU_DEP_2)
	v_add_f32_e32 v3, v3, v46
	v_dual_mov_b32 v37, v30 :: v_dual_fmac_f32 v18, 0x3f737871, v25
	s_delay_alu instid0(VALU_DEP_3) | instskip(NEXT) | instid1(VALU_DEP_3)
	v_fmac_f32_e32 v27, 0xbf167918, v26
	v_add_f32_e32 v3, v3, v56
	scratch_store_b32 off, v37, off offset:480 ; 4-byte Folded Spill
	v_fmac_f32_e32 v18, 0x3f167918, v26
	v_fmac_f32_e32 v27, 0x3e9e377a, v7
	v_add_f32_e32 v21, v3, v68
	v_add_f32_e32 v3, v28, v19
	s_delay_alu instid0(VALU_DEP_4) | instskip(SKIP_2) | instid1(VALU_DEP_2)
	v_fmac_f32_e32 v18, 0x3e9e377a, v7
	v_mul_f32_e32 v7, 0xbf4f1bbd, v11
	v_add_f32_e32 v5, v27, v17
	v_dual_add_f32 v2, v21, v29 :: v_dual_fmac_f32 v7, 0xbf167918, v10
	ds_store_2addr_b64 v30, v[2:3], v[4:5] offset1:30
	v_add_f32_e32 v2, v39, v69
	v_dual_sub_f32 v3, v57, v69 :: v_dual_sub_f32 v4, v50, v42
	v_add_f32_e32 v5, v42, v72
	s_delay_alu instid0(VALU_DEP_3) | instskip(SKIP_1) | instid1(VALU_DEP_3)
	v_dual_sub_f32 v30, v64, v72 :: v_dual_fmac_f32 v1, -0.5, v2
	v_sub_f32_e32 v2, v47, v39
	v_dual_fmac_f32 v34, -0.5, v5 :: v_dual_sub_f32 v5, v46, v38
	s_delay_alu instid0(VALU_DEP_2) | instskip(SKIP_2) | instid1(VALU_DEP_4)
	v_dual_add_f32 v2, v2, v3 :: v_dual_add_f32 v3, v4, v30
	v_sub_f32_e32 v30, v56, v68
	v_add_f32_e32 v4, v31, v33
	v_fmamk_f32 v32, v15, 0xbf737871, v34
	v_dual_fmac_f32 v34, 0x3f737871, v15 :: v_dual_add_f32 v31, v38, v68
	s_delay_alu instid0(VALU_DEP_4) | instskip(SKIP_2) | instid1(VALU_DEP_4)
	v_add_f32_e32 v5, v5, v30
	v_fmamk_f32 v30, v13, 0x3f737871, v35
	v_fmac_f32_e32 v35, 0xbf737871, v13
	v_fmac_f32_e32 v34, 0xbf167918, v14
	v_fma_f32 v0, -0.5, v31, v0
	v_fmac_f32_e32 v32, 0x3f167918, v14
	v_fmac_f32_e32 v30, 0xbf167918, v12
	;; [unrolled: 1-line block ×4, first 2 shown]
	v_fmamk_f32 v31, v23, 0xbf737871, v0
	v_fmac_f32_e32 v0, 0x3f737871, v23
	v_fmac_f32_e32 v30, 0x3e9e377a, v4
	v_dual_fmac_f32 v35, 0x3e9e377a, v4 :: v_dual_fmac_f32 v32, 0x3e9e377a, v3
	s_delay_alu instid0(VALU_DEP_4) | instskip(NEXT) | instid1(VALU_DEP_4)
	v_fmac_f32_e32 v31, 0x3f167918, v22
	v_fmac_f32_e32 v0, 0xbf167918, v22
	s_delay_alu instid0(VALU_DEP_4) | instskip(NEXT) | instid1(VALU_DEP_4)
	v_mul_f32_e32 v36, 0x3f737871, v30
	v_mul_f32_e32 v33, 0xbe9e377a, v35
	s_delay_alu instid0(VALU_DEP_4) | instskip(NEXT) | instid1(VALU_DEP_4)
	v_fmac_f32_e32 v31, 0x3e9e377a, v5
	v_fmac_f32_e32 v0, 0x3e9e377a, v5
	s_delay_alu instid0(VALU_DEP_4) | instskip(NEXT) | instid1(VALU_DEP_4)
	v_fmac_f32_e32 v36, 0x3e9e377a, v32
	v_fmac_f32_e32 v33, 0xbf737871, v34
	v_mul_f32_e32 v34, 0xbe9e377a, v34
	v_mul_f32_e32 v32, 0xbf737871, v32
	s_delay_alu instid0(VALU_DEP_4) | instskip(NEXT) | instid1(VALU_DEP_3)
	v_add_f32_e32 v4, v31, v36
	v_dual_fmac_f32 v34, 0x3f737871, v35 :: v_dual_fmamk_f32 v35, v26, 0x3f737871, v1
	v_fmac_f32_e32 v1, 0xbf737871, v26
	s_delay_alu instid0(VALU_DEP_4) | instskip(NEXT) | instid1(VALU_DEP_3)
	v_fmac_f32_e32 v32, 0x3e9e377a, v30
	v_fmac_f32_e32 v35, 0xbf167918, v25
	s_delay_alu instid0(VALU_DEP_3) | instskip(NEXT) | instid1(VALU_DEP_2)
	v_fmac_f32_e32 v1, 0x3f167918, v25
	v_fmac_f32_e32 v35, 0x3e9e377a, v2
	s_delay_alu instid0(VALU_DEP_2) | instskip(SKIP_1) | instid1(VALU_DEP_3)
	v_fmac_f32_e32 v1, 0x3e9e377a, v2
	v_add_f32_e32 v2, v0, v34
	v_dual_sub_f32 v0, v0, v34 :: v_dual_add_f32 v5, v35, v32
	s_delay_alu instid0(VALU_DEP_3)
	v_add_f32_e32 v3, v1, v33
	v_sub_f32_e32 v1, v1, v33
	ds_store_2addr_b64 v37, v[4:5], v[2:3] offset0:60 offset1:90
	v_dual_sub_f32 v2, v21, v29 :: v_dual_sub_f32 v3, v28, v19
	v_dual_add_f32 v4, v20, v6 :: v_dual_add_f32 v5, v18, v7
	ds_store_2addr_b64 v37, v[4:5], v[2:3] offset0:120 offset1:150
	v_dual_sub_f32 v2, v24, v16 :: v_dual_sub_f32 v3, v27, v17
	v_sub_f32_e32 v4, v31, v36
	v_sub_f32_e32 v5, v35, v32
	ds_store_2addr_b64 v37, v[2:3], v[4:5] offset0:180 offset1:210
	v_dual_sub_f32 v2, v20, v6 :: v_dual_sub_f32 v3, v18, v7
	v_add_nc_u32_e32 v4, 0x400, v37
	scratch_store_b32 off, v187, off offset:432 ; 4-byte Folded Spill
	v_mov_b32_e32 v187, v206
	scratch_store_b32 off, v4, off offset:268 ; 4-byte Folded Spill
	ds_store_2addr_b64 v4, v[0:1], v[2:3] offset0:112 offset1:142
	global_wb scope:SCOPE_SE
	s_wait_storecnt_dscnt 0x0
	s_barrier_signal -1
	s_barrier_wait -1
	global_inv scope:SCOPE_SE
	s_clause 0x1
	global_load_b128 v[4:7], v194, s[10:11] offset:2376
	global_load_b128 v[34:37], v194, s[10:11] offset:4776
	ds_load_2addr_b64 v[0:3], v196 offset0:132 offset1:222
	global_load_b128 v[38:41], v194, s[10:11] offset:3336
	s_wait_loadcnt 0x2
	v_mov_b32_e32 v9, v7
	v_dual_mov_b32 v8, v6 :: v_dual_mov_b32 v7, v5
	v_mov_b32_e32 v6, v4
	s_delay_alu instid0(VALU_DEP_3) | instskip(NEXT) | instid1(VALU_DEP_3)
	v_mov_b32_e32 v11, v9
	v_mov_b32_e32 v10, v8
	s_wait_dscnt 0x0
	v_mul_f32_e32 v4, v1, v7
	v_mul_f32_e32 v5, v0, v7
	v_mov_b32_e32 v9, v7
	v_mov_b32_e32 v8, v6
	s_delay_alu instid0(VALU_DEP_4) | instskip(NEXT) | instid1(VALU_DEP_4)
	v_fma_f32 v4, v0, v6, -v4
	v_fmac_f32_e32 v5, v1, v6
	scratch_store_b128 off, v[8:11], off offset:344 ; 16-byte Folded Spill
	global_load_b128 v[6:9], v48, s[10:11] offset:2376
	scratch_store_b32 off, v209, off offset:248 ; 4-byte Folded Spill
	s_wait_loadcnt 0x0
	scratch_store_b128 off, v[6:9], off offset:328 ; 16-byte Folded Spill
	v_mul_f32_e32 v0, v3, v7
	v_mul_f32_e32 v26, v2, v7
	s_delay_alu instid0(VALU_DEP_2) | instskip(NEXT) | instid1(VALU_DEP_2)
	v_fma_f32 v25, v2, v6, -v0
	v_fmac_f32_e32 v26, v3, v6
	ds_load_2addr_b64 v[0:3], v214 offset0:8 offset1:98
	s_wait_dscnt 0x0
	v_mul_f32_e32 v6, v1, v11
	v_dual_mul_f32 v7, v0, v11 :: v_dual_mul_f32 v28, v2, v9
	s_delay_alu instid0(VALU_DEP_2) | instskip(NEXT) | instid1(VALU_DEP_2)
	v_fma_f32 v6, v0, v10, -v6
	v_dual_mul_f32 v0, v3, v9 :: v_dual_fmac_f32 v7, v1, v10
	s_delay_alu instid0(VALU_DEP_3) | instskip(NEXT) | instid1(VALU_DEP_2)
	v_fmac_f32_e32 v28, v3, v8
	v_fma_f32 v27, v2, v8, -v0
	ds_load_2addr_b64 v[8:11], v250 offset1:90
	v_add_co_u32 v0, s12, 0xffffffe2, v209
	s_wait_alu 0xf1ff
	v_add_co_ci_u32_e64 v1, null, 0, -1, s12
	s_delay_alu instid0(VALU_DEP_1) | instskip(NEXT) | instid1(VALU_DEP_1)
	v_dual_cndmask_b32 v20, v0, v213 :: v_dual_cndmask_b32 v21, v1, v60
	v_lshlrev_b64_e32 v[0:1], 4, v[20:21]
	s_delay_alu instid0(VALU_DEP_1) | instskip(SKIP_3) | instid1(VALU_DEP_3)
	v_add_co_u32 v0, vcc_lo, s10, v0
	s_wait_dscnt 0x0
	v_dual_add_f32 v2, v8, v4 :: v_dual_add_f32 v3, v9, v5
	s_wait_alu 0xfffd
	v_add_co_ci_u32_e32 v1, vcc_lo, s11, v1, vcc_lo
	v_cmp_lt_u16_e64 vcc_lo, 29, v181
	s_delay_alu instid0(VALU_DEP_3) | instskip(SKIP_3) | instid1(VALU_DEP_2)
	v_dual_add_f32 v21, v2, v6 :: v_dual_add_f32 v22, v3, v7
	v_sub_f32_e32 v2, v5, v7
	v_add_f32_e32 v3, v5, v7
	v_add_f32_e32 v5, v4, v6
	v_fma_f32 v9, -0.5, v3, v9
	s_delay_alu instid0(VALU_DEP_2) | instskip(SKIP_1) | instid1(VALU_DEP_2)
	v_fma_f32 v8, -0.5, v5, v8
	v_sub_f32_e32 v3, v4, v6
	v_fmamk_f32 v23, v2, 0x3f5db3d7, v8
	v_fmac_f32_e32 v8, 0xbf5db3d7, v2
	s_delay_alu instid0(VALU_DEP_3) | instskip(SKIP_3) | instid1(VALU_DEP_2)
	v_fmamk_f32 v24, v3, 0xbf5db3d7, v9
	v_fmac_f32_e32 v9, 0x3f5db3d7, v3
	v_lshrrev_b16 v2, 2, v54
	v_lshrrev_b16 v3, 2, v52
	v_and_b32_e32 v2, 0xffff, v2
	s_delay_alu instid0(VALU_DEP_2) | instskip(NEXT) | instid1(VALU_DEP_2)
	v_and_b32_e32 v3, 0xffff, v3
	v_mul_u32_u24_e32 v2, 0x6d3b, v2
	s_delay_alu instid0(VALU_DEP_2) | instskip(NEXT) | instid1(VALU_DEP_2)
	v_mul_u32_u24_e32 v3, 0x6d3b, v3
	v_lshrrev_b32_e32 v2, 21, v2
	s_delay_alu instid0(VALU_DEP_2) | instskip(SKIP_1) | instid1(VALU_DEP_3)
	v_lshrrev_b32_e32 v29, 21, v3
	v_lshrrev_b16 v3, 2, v188
	v_mul_lo_u16 v2, 0x12c, v2
	s_delay_alu instid0(VALU_DEP_3) | instskip(NEXT) | instid1(VALU_DEP_3)
	v_mul_lo_u16 v4, 0x12c, v29
	v_and_b32_e32 v3, 0xffff, v3
	s_delay_alu instid0(VALU_DEP_3) | instskip(NEXT) | instid1(VALU_DEP_3)
	v_sub_nc_u16 v31, v54, v2
	v_sub_nc_u16 v30, v52, v4
	s_delay_alu instid0(VALU_DEP_3) | instskip(SKIP_1) | instid1(VALU_DEP_4)
	v_mul_u32_u24_e32 v2, 0x6d3b, v3
	v_lshrrev_b16 v3, 2, v190
	v_lshlrev_b16 v5, 4, v31
	s_delay_alu instid0(VALU_DEP_4) | instskip(NEXT) | instid1(VALU_DEP_4)
	v_lshlrev_b16 v4, 4, v30
	v_lshrrev_b32_e32 v2, 21, v2
	s_delay_alu instid0(VALU_DEP_4) | instskip(NEXT) | instid1(VALU_DEP_4)
	v_and_b32_e32 v3, 0xffff, v3
	v_and_b32_e32 v5, 0xffff, v5
	s_delay_alu instid0(VALU_DEP_4) | instskip(NEXT) | instid1(VALU_DEP_4)
	v_and_b32_e32 v4, 0xffff, v4
	v_mul_lo_u16 v6, 0x12c, v2
	s_delay_alu instid0(VALU_DEP_4) | instskip(NEXT) | instid1(VALU_DEP_3)
	v_mul_u32_u24_e32 v3, 0x6d3b, v3
	v_add_co_u32 v2, s12, s10, v4
	s_delay_alu instid0(VALU_DEP_2) | instskip(NEXT) | instid1(VALU_DEP_4)
	v_lshrrev_b32_e32 v7, 21, v3
	v_sub_nc_u16 v32, v188, v6
	s_wait_alu 0xf1ff
	v_add_co_ci_u32_e64 v3, null, s11, 0, s12
	v_add_co_u32 v4, s12, s10, v5
	v_mul_lo_u16 v6, 0x12c, v7
	s_wait_alu 0xf1ff
	v_add_co_ci_u32_e64 v5, null, s11, 0, s12
	s_delay_alu instid0(VALU_DEP_2) | instskip(SKIP_1) | instid1(VALU_DEP_2)
	v_sub_nc_u16 v33, v190, v6
	v_lshlrev_b16 v6, 4, v32
	v_lshlrev_b16 v7, 4, v33
	s_delay_alu instid0(VALU_DEP_2) | instskip(NEXT) | instid1(VALU_DEP_2)
	v_and_b32_e32 v6, 0xffff, v6
	v_and_b32_e32 v12, 0xffff, v7
	s_delay_alu instid0(VALU_DEP_2) | instskip(SKIP_2) | instid1(VALU_DEP_3)
	v_add_co_u32 v6, s12, s10, v6
	s_wait_alu 0xf1ff
	v_add_co_ci_u32_e64 v7, null, s11, 0, s12
	v_add_co_u32 v12, s12, s10, v12
	s_wait_alu 0xf1ff
	v_add_co_ci_u32_e64 v13, null, s11, 0, s12
	s_clause 0x5
	global_load_b128 v[234:237], v[2:3], off offset:2376
	global_load_b128 v[238:241], v[4:5], off offset:2376
	global_load_b128 v[217:220], v[6:7], off offset:2376
	global_load_b128 v[176:179], v[12:13], off offset:2376
	global_load_b128 v[230:233], v[0:1], off offset:2376
	global_load_b128 v[222:225], v53, s[10:11] offset:2376
	ds_load_2addr_b64 v[4:7], v207 offset0:52 offset1:142
	ds_load_2addr_b64 v[12:15], v210 offset0:56 offset1:146
	;; [unrolled: 1-line block ×12, first 2 shown]
	global_wb scope:SCOPE_SE
	s_wait_storecnt 0x0
	s_wait_loadcnt_dscnt 0x0
	s_barrier_signal -1
	s_barrier_wait -1
	global_inv scope:SCOPE_SE
	ds_store_b64 v250, v[23:24] offset:2400
	ds_store_b64 v250, v[8:9] offset:4800
	v_dual_add_f32 v8, v10, v25 :: v_dual_add_f32 v9, v11, v26
	v_add_f32_e32 v23, v26, v28
	scratch_store_b128 off, v[38:41], off offset:376 ; 16-byte Folded Spill
	v_dual_add_f32 v8, v8, v27 :: v_dual_add_f32 v9, v9, v28
	v_fmac_f32_e32 v11, -0.5, v23
	v_sub_f32_e32 v23, v25, v27
	ds_store_2addr_b64 v250, v[21:22], v[8:9] offset1:90
	v_dual_mul_f32 v43, v2, v177 :: v_dual_mul_f32 v8, v13, v223
	s_delay_alu instid0(VALU_DEP_1) | instskip(NEXT) | instid1(VALU_DEP_2)
	v_dual_mul_f32 v22, v60, v225 :: v_dual_fmac_f32 v43, v3, v176
	v_fma_f32 v21, v12, v222, -v8
	v_mul_f32_e32 v12, v12, v223
	v_mul_f32_e32 v8, v61, v225
	s_delay_alu instid0(VALU_DEP_4) | instskip(NEXT) | instid1(VALU_DEP_3)
	v_fmac_f32_e32 v22, v61, v224
	v_fmac_f32_e32 v12, v13, v222
	s_delay_alu instid0(VALU_DEP_3) | instskip(NEXT) | instid1(VALU_DEP_2)
	v_fma_f32 v13, v60, v224, -v8
	v_dual_add_f32 v8, v4, v21 :: v_dual_add_f32 v9, v5, v12
	s_delay_alu instid0(VALU_DEP_4) | instskip(NEXT) | instid1(VALU_DEP_2)
	v_sub_f32_e32 v24, v12, v22
	v_dual_add_f32 v8, v8, v13 :: v_dual_add_f32 v9, v9, v22
	ds_store_b64 v250, v[8:9] offset:1440
	v_dual_add_f32 v8, v25, v27 :: v_dual_sub_f32 v9, v26, v28
	v_mul_f32_e32 v26, v74, v37
	v_mul_f32_e32 v25, v75, v37
	;; [unrolled: 1-line block ×4, first 2 shown]
	s_delay_alu instid0(VALU_DEP_4)
	v_dual_fmac_f32 v26, v75, v36 :: v_dual_mov_b32 v75, v208
	v_fma_f32 v10, -0.5, v8, v10
	v_fma_f32 v25, v74, v36, -v25
	v_fma_f32 v27, v198, v234, -v27
	v_fmac_f32_e32 v28, v199, v234
	v_mov_b32_e32 v74, v212
	v_fmamk_f32 v8, v9, 0x3f5db3d7, v10
	v_dual_fmac_f32 v10, 0xbf5db3d7, v9 :: v_dual_add_f32 v9, v12, v22
	v_add_f32_e32 v12, v21, v13
	v_dual_sub_f32 v21, v21, v13 :: v_dual_mul_f32 v22, v70, v35
	s_delay_alu instid0(VALU_DEP_3) | instskip(NEXT) | instid1(VALU_DEP_3)
	v_fma_f32 v5, -0.5, v9, v5
	v_fma_f32 v4, -0.5, v12, v4
	v_fmamk_f32 v9, v23, 0xbf5db3d7, v11
	v_fmac_f32_e32 v11, 0x3f5db3d7, v23
	v_mul_f32_e32 v23, v73, v41
	v_fmamk_f32 v13, v21, 0xbf5db3d7, v5
	v_fmamk_f32 v12, v24, 0x3f5db3d7, v4
	v_fmac_f32_e32 v4, 0xbf5db3d7, v24
	v_mul_f32_e32 v24, v72, v41
	v_fmac_f32_e32 v5, 0x3f5db3d7, v21
	v_fma_f32 v23, v72, v40, -v23
	v_mul_f32_e32 v41, v0, v218
	ds_store_2addr_b64 v184, v[8:9], v[12:13] offset0:134 offset1:224
	v_fmac_f32_e32 v24, v73, v40
	v_mul_f32_e32 v40, v1, v218
	ds_store_2addr_b64 v208, v[10:11], v[4:5] offset0:50 offset1:140
	v_mul_f32_e32 v4, v15, v231
	v_dual_mul_f32 v10, v63, v233 :: v_dual_mul_f32 v5, v14, v231
	v_fma_f32 v40, v0, v217, -v40
	v_mul_f32_e32 v0, v3, v177
	s_delay_alu instid0(VALU_DEP_4) | instskip(NEXT) | instid1(VALU_DEP_4)
	v_fma_f32 v4, v14, v230, -v4
	v_fma_f32 v10, v62, v232, -v10
	v_mul_f32_e32 v11, v62, v233
	v_fmac_f32_e32 v5, v15, v230
	v_fma_f32 v42, v2, v176, -v0
	s_wait_alu 0xfffd
	v_cndmask_b32_e64 v0, 0, 0x384, vcc_lo
	v_dual_mul_f32 v14, v69, v39 :: v_dual_fmac_f32 v11, v63, v232
	v_dual_fmac_f32 v41, v1, v217 :: v_dual_add_f32 v2, v6, v4
	s_delay_alu instid0(VALU_DEP_3) | instskip(SKIP_1) | instid1(VALU_DEP_4)
	v_add_lshl_u32 v8, v20, v0, 3
	v_dual_add_f32 v0, v4, v10 :: v_dual_add_f32 v1, v7, v5
	v_fma_f32 v14, v68, v38, -v14
	v_mul_f32_e32 v15, v68, v39
	v_sub_f32_e32 v4, v4, v10
	s_delay_alu instid0(VALU_DEP_4)
	v_fma_f32 v6, -0.5, v0, v6
	v_add_f32_e32 v0, v5, v11
	v_add_f32_e32 v1, v1, v11
	v_fmac_f32_e32 v15, v69, v38
	v_sub_f32_e32 v5, v5, v11
	s_clause 0x1
	scratch_store_b128 off, v[34:37], off offset:360
	scratch_store_b32 off, v8, off offset:264
	v_dual_fmac_f32 v7, -0.5, v0 :: v_dual_add_f32 v0, v2, v10
	v_fmamk_f32 v2, v5, 0x3f5db3d7, v6
	v_dual_fmac_f32 v6, 0xbf5db3d7, v5 :: v_dual_mul_f32 v21, v71, v35
	s_delay_alu instid0(VALU_DEP_3)
	v_fmamk_f32 v3, v4, 0xbf5db3d7, v7
	ds_store_b64 v8, v[0:1]
	v_dual_add_f32 v0, v14, v23 :: v_dual_fmac_f32 v7, 0x3f5db3d7, v4
	v_sub_f32_e32 v1, v15, v24
	ds_store_b64 v8, v[6:7] offset:4800
	ds_store_b64 v8, v[2:3] offset:2400
	v_fma_f32 v0, -0.5, v0, v64
	v_fma_f32 v21, v70, v34, -v21
	v_sub_f32_e32 v4, v14, v23
	v_fmac_f32_e32 v22, v71, v34
	v_mul_f32_e32 v36, v56, v237
	v_fmamk_f32 v2, v1, 0x3f5db3d7, v0
	v_dual_fmac_f32 v0, 0xbf5db3d7, v1 :: v_dual_add_f32 v1, v15, v24
	v_add_f32_e32 v6, v66, v21
	v_sub_f32_e32 v5, v22, v26
	v_dual_add_f32 v7, v67, v22 :: v_dual_sub_f32 v8, v21, v25
	s_delay_alu instid0(VALU_DEP_4) | instskip(SKIP_1) | instid1(VALU_DEP_3)
	v_fma_f32 v1, -0.5, v1, v65
	v_mul_f32_e32 v37, v55, v237
	v_dual_add_f32 v6, v6, v25 :: v_dual_add_f32 v7, v7, v26
	v_fma_f32 v36, v55, v236, -v36
	s_delay_alu instid0(VALU_DEP_4)
	v_fmamk_f32 v3, v4, 0xbf5db3d7, v1
	v_dual_fmac_f32 v1, 0x3f5db3d7, v4 :: v_dual_add_f32 v4, v21, v25
	v_fmac_f32_e32 v37, v56, v236
	s_clause 0x1
	scratch_store_b128 off, v[217:220], off offset:436
	scratch_store_b128 off, v[176:179], off offset:392
	v_mul_f32_e32 v34, v201, v239
	v_fma_f32 v66, -0.5, v4, v66
	v_dual_mul_f32 v38, v58, v241 :: v_dual_mul_f32 v35, v200, v239
	v_mul_f32_e32 v39, v57, v241
	s_delay_alu instid0(VALU_DEP_4) | instskip(NEXT) | instid1(VALU_DEP_4)
	v_fma_f32 v34, v200, v238, -v34
	v_fmamk_f32 v4, v5, 0x3f5db3d7, v66
	v_dual_fmac_f32 v66, 0xbf5db3d7, v5 :: v_dual_add_f32 v5, v22, v26
	v_fma_f32 v38, v57, v240, -v38
	v_fmac_f32_e32 v35, v201, v238
	v_fmac_f32_e32 v39, v58, v240
	v_mul_f32_e32 v9, v16, v220
	v_dual_fmac_f32 v67, -0.5, v5 :: v_dual_mul_f32 v10, v19, v179
	v_mul_f32_e32 v11, v18, v179
	s_delay_alu instid0(VALU_DEP_3) | instskip(NEXT) | instid1(VALU_DEP_3)
	v_dual_mov_b32 v68, v210 :: v_dual_fmac_f32 v9, v17, v219
	v_fmamk_f32 v5, v8, 0xbf5db3d7, v67
	v_fmac_f32_e32 v67, 0x3f5db3d7, v8
	v_mul_f32_e32 v8, v17, v220
	v_fma_f32 v10, v18, v178, -v10
	v_fmac_f32_e32 v11, v19, v178
	v_mov_b32_e32 v73, v205
	ds_store_2addr_b64 v205, v[0:1], v[66:67] offset0:24 offset1:114
	v_dual_add_f32 v0, v64, v14 :: v_dual_add_f32 v1, v65, v15
	v_fma_f32 v8, v16, v219, -v8
	v_mov_b32_e32 v72, v215
	s_delay_alu instid0(VALU_DEP_3)
	v_dual_add_f32 v0, v0, v23 :: v_dual_add_f32 v1, v1, v24
	ds_store_2addr_b64 v216, v[0:1], v[6:7] offset0:64 offset1:154
	ds_store_2addr_b64 v206, v[2:3], v[4:5] offset0:108 offset1:198
	v_mad_u16 v4, 0x384, v29, v30
	v_dual_add_f32 v0, v76, v27 :: v_dual_add_f32 v1, v77, v28
	v_dual_add_f32 v3, v28, v37 :: v_dual_add_f32 v2, v27, v36
	s_delay_alu instid0(VALU_DEP_3) | instskip(NEXT) | instid1(VALU_DEP_3)
	v_and_b32_e32 v4, 0xffff, v4
	v_dual_add_f32 v0, v0, v36 :: v_dual_add_f32 v1, v1, v37
	v_sub_f32_e32 v6, v28, v37
	s_delay_alu instid0(VALU_DEP_4) | instskip(SKIP_3) | instid1(VALU_DEP_4)
	v_fma_f32 v2, -0.5, v2, v76
	v_fma_f32 v3, -0.5, v3, v77
	v_sub_f32_e32 v7, v27, v36
	v_lshlrev_b32_e32 v12, 3, v4
	v_fmamk_f32 v4, v6, 0x3f5db3d7, v2
	s_delay_alu instid0(VALU_DEP_3)
	v_dual_fmac_f32 v2, 0xbf5db3d7, v6 :: v_dual_fmamk_f32 v5, v7, 0xbf5db3d7, v3
	ds_store_b64 v12, v[0:1]
	v_dual_add_f32 v0, v34, v38 :: v_dual_fmac_f32 v3, 0x3f5db3d7, v7
	scratch_store_b32 off, v12, off offset:276 ; 4-byte Folded Spill
	ds_store_b64 v12, v[4:5] offset:2400
	ds_store_b64 v12, v[2:3] offset:4800
	v_add_f32_e32 v2, v78, v34
	v_fma_f32 v78, -0.5, v0, v78
	v_add_f32_e32 v0, v35, v39
	v_add_f32_e32 v1, v79, v35
	v_dual_sub_f32 v4, v35, v39 :: v_dual_sub_f32 v5, v34, v38
	s_delay_alu instid0(VALU_DEP_3) | instskip(SKIP_1) | instid1(VALU_DEP_4)
	v_dual_fmac_f32 v79, -0.5, v0 :: v_dual_add_f32 v0, v2, v38
	v_and_b32_e32 v2, 0xffff, v31
	v_add_f32_e32 v1, v1, v39
	s_delay_alu instid0(VALU_DEP_3) | instskip(NEXT) | instid1(VALU_DEP_3)
	v_fmamk_f32 v3, v5, 0xbf5db3d7, v79
	v_dual_fmac_f32 v79, 0x3f5db3d7, v5 :: v_dual_lshlrev_b32 v6, 3, v2
	v_fmamk_f32 v2, v4, 0x3f5db3d7, v78
	v_fmac_f32_e32 v78, 0xbf5db3d7, v4
	v_dual_add_f32 v5, v47, v43 :: v_dual_and_b32 v4, 0xffff, v32
	ds_store_b64 v6, v[0:1] offset:14400
	v_dual_add_f32 v0, v44, v40 :: v_dual_add_f32 v1, v45, v41
	v_lshlrev_b32_e32 v4, 3, v4
	scratch_store_b32 off, v6, off offset:288 ; 4-byte Folded Spill
	v_dual_add_f32 v5, v5, v11 :: v_dual_add_f32 v0, v0, v8
	v_add_f32_e32 v1, v1, v9
	ds_store_b64 v6, v[78:79] offset:19200
	ds_store_b64 v4, v[0:1] offset:14400
	v_dual_add_f32 v1, v41, v9 :: v_dual_add_f32 v0, v40, v8
	v_mov_b32_e32 v12, v4
	ds_store_b64 v6, v[2:3] offset:16800
	v_sub_f32_e32 v3, v41, v9
	v_fma_f32 v1, -0.5, v1, v45
	v_fma_f32 v0, -0.5, v0, v44
	v_sub_f32_e32 v4, v40, v8
	v_and_b32_e32 v6, 0xffff, v33
	v_lshlrev_b32_e32 v40, 4, v52
	s_delay_alu instid0(VALU_DEP_4) | instskip(NEXT) | instid1(VALU_DEP_4)
	v_dual_fmamk_f32 v2, v3, 0x3f5db3d7, v0 :: v_dual_lshlrev_b32 v41, 4, v54
	v_dual_fmac_f32 v0, 0xbf5db3d7, v3 :: v_dual_fmamk_f32 v3, v4, 0xbf5db3d7, v1
	v_dual_fmac_f32 v1, 0x3f5db3d7, v4 :: v_dual_add_f32 v4, v46, v42
	v_lshlrev_b32_e32 v7, 3, v6
	v_sub_f32_e32 v6, v42, v10
	scratch_store_b32 off, v12, off offset:308 ; 4-byte Folded Spill
	ds_store_b64 v12, v[0:1] offset:19200
	v_dual_add_f32 v0, v42, v10 :: v_dual_sub_f32 v1, v43, v11
	v_add_f32_e32 v4, v4, v10
	scratch_store_b32 off, v7, off offset:284 ; 4-byte Folded Spill
	v_fma_f32 v46, -0.5, v0, v46
	v_add_f32_e32 v0, v43, v11
	s_delay_alu instid0(VALU_DEP_1) | instskip(NEXT) | instid1(VALU_DEP_1)
	v_dual_fmac_f32 v47, -0.5, v0 :: v_dual_fmamk_f32 v0, v1, 0x3f5db3d7, v46
	v_dual_fmac_f32 v46, 0xbf5db3d7, v1 :: v_dual_fmamk_f32 v1, v6, 0xbf5db3d7, v47
	v_fmac_f32_e32 v47, 0x3f5db3d7, v6
	ds_store_b64 v7, v[46:47] offset:19200
	ds_store_b64 v12, v[2:3] offset:16800
	;; [unrolled: 1-line block ×4, first 2 shown]
	global_wb scope:SCOPE_SE
	s_wait_storecnt_dscnt 0x0
	s_barrier_signal -1
	s_barrier_wait -1
	global_inv scope:SCOPE_SE
	s_clause 0x1
	global_load_b128 v[10:13], v194, s[10:11] offset:7176
	global_load_b128 v[6:9], v48, s[10:11] offset:7176
	ds_load_2addr_b64 v[0:3], v196 offset0:132 offset1:222
	ds_load_2addr_b64 v[60:63], v250 offset1:90
	s_wait_loadcnt_dscnt 0x101
	v_mul_f32_e32 v4, v1, v11
	v_mul_f32_e32 v5, v0, v11
	s_wait_loadcnt 0x0
	v_mul_f32_e32 v29, v2, v7
	s_clause 0x1
	scratch_store_b128 off, v[10:13], off offset:312
	scratch_store_b128 off, v[6:9], off offset:292
	v_fma_f32 v4, v0, v10, -v4
	v_dual_mul_f32 v0, v3, v7 :: v_dual_fmac_f32 v5, v1, v10
	v_fmac_f32_e32 v29, v3, v6
	s_delay_alu instid0(VALU_DEP_2) | instskip(SKIP_4) | instid1(VALU_DEP_2)
	v_fma_f32 v28, v2, v6, -v0
	ds_load_2addr_b64 v[0:3], v214 offset0:8 offset1:98
	s_wait_dscnt 0x0
	v_mul_f32_e32 v6, v1, v13
	v_mul_f32_e32 v31, v2, v9
	v_fma_f32 v6, v0, v12, -v6
	s_delay_alu instid0(VALU_DEP_2) | instskip(NEXT) | instid1(VALU_DEP_1)
	v_dual_mul_f32 v0, v0, v13 :: v_dual_fmac_f32 v31, v3, v8
	v_dual_fmac_f32 v0, v1, v12 :: v_dual_mul_f32 v1, v3, v9
	s_delay_alu instid0(VALU_DEP_1) | instskip(NEXT) | instid1(VALU_DEP_2)
	v_sub_f32_e32 v3, v5, v0
	v_fma_f32 v30, v2, v8, -v1
	v_dual_add_f32 v1, v60, v4 :: v_dual_add_f32 v2, v61, v5
	s_delay_alu instid0(VALU_DEP_2) | instskip(NEXT) | instid1(VALU_DEP_2)
	v_add_f32_e32 v32, v28, v30
	v_dual_add_f32 v64, v1, v6 :: v_dual_add_f32 v65, v2, v0
	v_dual_add_f32 v1, v5, v0 :: v_dual_add_f32 v0, v4, v6
	v_sub_f32_e32 v4, v4, v6
	s_delay_alu instid0(VALU_DEP_2) | instskip(NEXT) | instid1(VALU_DEP_3)
	v_fma_f32 v1, -0.5, v1, v61
	v_fma_f32 v0, -0.5, v0, v60
	s_delay_alu instid0(VALU_DEP_1) | instskip(NEXT) | instid1(VALU_DEP_3)
	v_fmamk_f32 v2, v3, 0x3f5db3d7, v0
	v_dual_fmac_f32 v0, 0xbf5db3d7, v3 :: v_dual_fmamk_f32 v3, v4, 0xbf5db3d7, v1
	v_fmac_f32_e32 v1, 0x3f5db3d7, v4
	ds_store_b64 v250, v[2:3] offset:7200
	ds_store_b64 v250, v[0:1] offset:14400
	v_add_f32_e32 v0, v62, v28
	v_fma_f32 v62, -0.5, v32, v62
	v_dual_add_f32 v32, v29, v31 :: v_dual_add_f32 v1, v63, v29
	s_delay_alu instid0(VALU_DEP_3) | instskip(NEXT) | instid1(VALU_DEP_2)
	v_dual_sub_f32 v29, v29, v31 :: v_dual_add_f32 v60, v0, v30
	v_dual_sub_f32 v30, v28, v30 :: v_dual_fmac_f32 v63, -0.5, v32
	s_delay_alu instid0(VALU_DEP_3) | instskip(NEXT) | instid1(VALU_DEP_3)
	v_add_f32_e32 v61, v1, v31
	v_fmamk_f32 v28, v29, 0x3f5db3d7, v62
	v_fmac_f32_e32 v62, 0xbf5db3d7, v29
	ds_load_2addr_b64 v[4:7], v207 offset0:52 offset1:142
	v_fmamk_f32 v29, v30, 0xbf5db3d7, v63
	v_dual_fmac_f32 v63, 0x3f5db3d7, v30 :: v_dual_lshlrev_b32 v30, 4, v213
	ds_load_2addr_b64 v[8:11], v210 offset0:56 offset1:146
	ds_load_2addr_b64 v[16:19], v186 offset0:60 offset1:150
	;; [unrolled: 1-line block ×11, first 2 shown]
	ds_store_2addr_b64 v250, v[64:65], v[60:61] offset1:90
	s_clause 0x1
	global_load_b128 v[76:79], v53, s[10:11] offset:7176
	global_load_b128 v[202:205], v30, s[10:11] offset:7176
	s_wait_loadcnt_dscnt 0x10b
	v_dual_mov_b32 v53, v51 :: v_dual_mul_f32 v30, v9, v77
	v_mul_f32_e32 v31, v8, v77
	s_wait_dscnt 0xa
	v_mul_f32_e32 v33, v16, v79
	s_wait_loadcnt 0x0
	v_mul_f32_e32 v35, v18, v205
	v_fma_f32 v30, v8, v76, -v30
	v_mul_f32_e32 v8, v17, v79
	v_fmac_f32_e32 v31, v9, v76
	v_fmac_f32_e32 v33, v17, v78
	;; [unrolled: 1-line block ×3, first 2 shown]
	s_delay_alu instid0(VALU_DEP_4) | instskip(NEXT) | instid1(VALU_DEP_1)
	v_fma_f32 v32, v16, v78, -v8
	v_dual_sub_f32 v9, v31, v33 :: v_dual_add_f32 v8, v30, v32
	v_sub_f32_e32 v34, v30, v32
	v_add_f32_e32 v30, v4, v30
	s_delay_alu instid0(VALU_DEP_3) | instskip(NEXT) | instid1(VALU_DEP_1)
	v_fma_f32 v8, -0.5, v8, v4
	v_fmamk_f32 v16, v9, 0x3f5db3d7, v8
	v_fmac_f32_e32 v8, 0xbf5db3d7, v9
	v_add_f32_e32 v9, v31, v33
	v_add_f32_e32 v31, v5, v31
	s_delay_alu instid0(VALU_DEP_2) | instskip(NEXT) | instid1(VALU_DEP_1)
	v_fma_f32 v9, -0.5, v9, v5
	v_fmamk_f32 v17, v34, 0xbf5db3d7, v9
	v_fmac_f32_e32 v9, 0x3f5db3d7, v34
	ds_store_2addr_b64 v214, v[62:63], v[8:9] offset0:98 offset1:188
	v_mul_f32_e32 v8, v11, v203
	v_mul_f32_e32 v9, v10, v203
	s_delay_alu instid0(VALU_DEP_2) | instskip(SKIP_1) | instid1(VALU_DEP_3)
	v_fma_f32 v8, v10, v202, -v8
	v_mul_f32_e32 v10, v19, v205
	v_fmac_f32_e32 v9, v11, v202
	v_lshlrev_b32_e32 v11, 4, v193
	s_delay_alu instid0(VALU_DEP_3)
	v_fma_f32 v34, v18, v204, -v10
	v_lshlrev_b32_e32 v10, 4, v189
	s_clause 0x1
	global_load_b128 v[176:179], v10, s[10:11] offset:7176
	global_load_b128 v[206:209], v11, s[10:11] offset:7176
	v_add_f32_e32 v49, v7, v9
	v_mov_b32_e32 v189, v184
	s_wait_loadcnt_dscnt 0x109
	v_mul_f32_e32 v11, v44, v177
	s_wait_dscnt 0x8
	v_dual_mul_f32 v37, v55, v179 :: v_dual_mul_f32 v10, v45, v177
	s_wait_loadcnt 0x0
	v_mul_f32_e32 v18, v47, v207
	v_mul_f32_e32 v19, v46, v207
	v_fmac_f32_e32 v11, v45, v176
	v_fmac_f32_e32 v37, v56, v178
	v_mov_b32_e32 v192, v216
	s_clause 0x1
	global_load_b128 v[210:213], v40, s[10:11] offset:7176
	global_load_b128 v[214:217], v41, s[10:11] offset:7176
	v_fma_f32 v10, v44, v176, -v10
	v_fma_f32 v18, v46, v206, -v18
	v_mul_f32_e32 v36, v56, v179
	v_mul_f32_e32 v38, v58, v209
	;; [unrolled: 1-line block ×3, first 2 shown]
	v_fmac_f32_e32 v19, v47, v206
	s_delay_alu instid0(VALU_DEP_4) | instskip(NEXT) | instid1(VALU_DEP_4)
	v_fma_f32 v36, v55, v178, -v36
	v_fma_f32 v38, v57, v208, -v38
	s_delay_alu instid0(VALU_DEP_4)
	v_fmac_f32_e32 v39, v58, v208
	v_add_nc_u32_e32 v57, 0x4400, v250
	v_add_nc_u32_e32 v58, 0x2c00, v250
	v_sub_f32_e32 v50, v10, v36
	v_sub_f32_e32 v4, v18, v38
	s_wait_loadcnt_dscnt 0x106
	v_mul_f32_e32 v40, v1, v211
	v_mul_f32_e32 v41, v0, v211
	s_wait_loadcnt 0x0
	v_mul_f32_e32 v43, v2, v215
	s_delay_alu instid0(VALU_DEP_3) | instskip(NEXT) | instid1(VALU_DEP_3)
	v_fma_f32 v40, v0, v210, -v40
	v_dual_mul_f32 v0, v3, v215 :: v_dual_fmac_f32 v41, v1, v210
	v_lshlrev_b32_e32 v1, 4, v190
	s_delay_alu instid0(VALU_DEP_4) | instskip(SKIP_1) | instid1(VALU_DEP_4)
	v_fmac_f32_e32 v43, v3, v214
	v_sub_f32_e32 v3, v11, v37
	v_fma_f32 v42, v2, v214, -v0
	s_wait_dscnt 0x5
	v_mul_f32_e32 v0, v21, v213
	v_sub_f32_e32 v2, v8, v34
	s_delay_alu instid0(VALU_DEP_2) | instskip(SKIP_2) | instid1(VALU_DEP_2)
	v_fma_f32 v44, v20, v212, -v0
	v_mul_f32_e32 v20, v20, v213
	v_mul_f32_e32 v0, v23, v217
	v_fmac_f32_e32 v20, v21, v212
	s_delay_alu instid0(VALU_DEP_2)
	v_fma_f32 v21, v22, v216, -v0
	v_lshlrev_b32_e32 v0, 4, v188
	s_clause 0x1
	global_load_b128 v[218:221], v0, s[10:11] offset:7176
	global_load_b128 v[226:229], v1, s[10:11] offset:7176
	v_dual_mul_f32 v22, v22, v217 :: v_dual_sub_f32 v1, v9, v35
	v_sub_f32_e32 v5, v41, v20
	ds_store_2addr_b64 v192, v[28:29], v[16:17] offset0:94 offset1:184
	s_add_nc_u64 s[10:11], s[8:9], 0x5460
	v_fmac_f32_e32 v22, v23, v216
	s_wait_loadcnt_dscnt 0x104
	v_mul_f32_e32 v0, v252, v219
	v_mul_f32_e32 v45, v251, v219
	s_wait_loadcnt 0x0
	v_mul_f32_e32 v47, v253, v227
	s_delay_alu instid0(VALU_DEP_3) | instskip(NEXT) | instid1(VALU_DEP_3)
	v_fma_f32 v23, v251, v218, -v0
	v_dual_mul_f32 v0, v254, v227 :: v_dual_fmac_f32 v45, v252, v218
	s_delay_alu instid0(VALU_DEP_3) | instskip(NEXT) | instid1(VALU_DEP_2)
	v_fmac_f32_e32 v47, v254, v226
	v_fma_f32 v46, v253, v226, -v0
	s_wait_dscnt 0x3
	v_mul_f32_e32 v0, v25, v221
	s_delay_alu instid0(VALU_DEP_1) | instskip(SKIP_2) | instid1(VALU_DEP_2)
	v_fma_f32 v48, v24, v220, -v0
	v_mul_f32_e32 v24, v24, v221
	v_mul_f32_e32 v0, v27, v229
	v_fmac_f32_e32 v24, v25, v220
	s_delay_alu instid0(VALU_DEP_2) | instskip(SKIP_2) | instid1(VALU_DEP_2)
	v_fma_f32 v25, v26, v228, -v0
	v_mul_f32_e32 v26, v26, v229
	v_add_f32_e32 v0, v8, v34
	v_fmac_f32_e32 v26, v27, v228
	v_add_f32_e32 v27, v6, v8
	s_delay_alu instid0(VALU_DEP_3) | instskip(NEXT) | instid1(VALU_DEP_1)
	v_fma_f32 v6, -0.5, v0, v6
	v_fmamk_f32 v0, v1, 0x3f5db3d7, v6
	v_dual_fmac_f32 v6, 0xbf5db3d7, v1 :: v_dual_add_f32 v1, v9, v35
	s_delay_alu instid0(VALU_DEP_1) | instskip(NEXT) | instid1(VALU_DEP_1)
	v_fmac_f32_e32 v7, -0.5, v1
	v_fmamk_f32 v1, v2, 0xbf5db3d7, v7
	v_dual_fmac_f32 v7, 0x3f5db3d7, v2 :: v_dual_add_f32 v2, v10, v36
	s_delay_alu instid0(VALU_DEP_1) | instskip(SKIP_2) | instid1(VALU_DEP_3)
	v_fma_f32 v2, -0.5, v2, v180
	v_add_f32_e32 v180, v180, v10
	v_sub_f32_e32 v10, v42, v21
	v_fmamk_f32 v8, v3, 0x3f5db3d7, v2
	v_dual_fmac_f32 v2, 0xbf5db3d7, v3 :: v_dual_add_f32 v3, v11, v37
	s_delay_alu instid0(VALU_DEP_1) | instskip(SKIP_2) | instid1(VALU_DEP_3)
	v_fma_f32 v3, -0.5, v3, v181
	v_add_f32_e32 v181, v181, v11
	v_sub_f32_e32 v11, v45, v24
	v_fmamk_f32 v9, v50, 0xbf5db3d7, v3
	v_fmac_f32_e32 v3, 0x3f5db3d7, v50
	v_add_f32_e32 v50, v182, v18
	ds_store_2addr_b64 v51, v[6:7], v[2:3] offset0:22 offset1:112
	v_dual_add_f32 v2, v18, v38 :: v_dual_sub_f32 v3, v19, v39
	v_dual_add_f32 v51, v183, v19 :: v_dual_sub_f32 v18, v40, v44
	s_delay_alu instid0(VALU_DEP_2) | instskip(NEXT) | instid1(VALU_DEP_1)
	v_fma_f32 v182, -0.5, v2, v182
	v_fmamk_f32 v2, v3, 0x3f5db3d7, v182
	v_fmac_f32_e32 v182, 0xbf5db3d7, v3
	v_add_f32_e32 v3, v19, v39
	s_delay_alu instid0(VALU_DEP_1) | instskip(NEXT) | instid1(VALU_DEP_1)
	v_fmac_f32_e32 v183, -0.5, v3
	v_fmamk_f32 v3, v4, 0xbf5db3d7, v183
	v_fmac_f32_e32 v183, 0x3f5db3d7, v4
	v_add_f32_e32 v4, v40, v44
	s_delay_alu instid0(VALU_DEP_1) | instskip(NEXT) | instid1(VALU_DEP_1)
	v_fma_f32 v4, -0.5, v4, v12
	v_fmamk_f32 v6, v5, 0x3f5db3d7, v4
	v_dual_fmac_f32 v4, 0xbf5db3d7, v5 :: v_dual_add_f32 v5, v41, v20
	s_delay_alu instid0(VALU_DEP_1) | instskip(NEXT) | instid1(VALU_DEP_1)
	v_fma_f32 v5, -0.5, v5, v13
	v_fmamk_f32 v7, v18, 0xbf5db3d7, v5
	v_fmac_f32_e32 v5, 0x3f5db3d7, v18
	ds_store_2addr_b64 v57, v[182:183], v[4:5] offset0:74 offset1:164
	v_add_f32_e32 v4, v42, v21
	v_add_f32_e32 v182, v14, v42
	v_sub_f32_e32 v5, v43, v22
	v_sub_f32_e32 v42, v23, v48
	s_delay_alu instid0(VALU_DEP_4) | instskip(NEXT) | instid1(VALU_DEP_1)
	v_fma_f32 v14, -0.5, v4, v14
	v_fmamk_f32 v4, v5, 0x3f5db3d7, v14
	v_dual_fmac_f32 v14, 0xbf5db3d7, v5 :: v_dual_add_f32 v5, v43, v22
	v_add_f32_e32 v43, v15, v43
	s_delay_alu instid0(VALU_DEP_2) | instskip(NEXT) | instid1(VALU_DEP_1)
	v_fmac_f32_e32 v15, -0.5, v5
	v_fmamk_f32 v5, v10, 0xbf5db3d7, v15
	v_dual_fmac_f32 v15, 0x3f5db3d7, v10 :: v_dual_add_f32 v10, v23, v48
	s_delay_alu instid0(VALU_DEP_1) | instskip(NEXT) | instid1(VALU_DEP_1)
	v_fma_f32 v10, -0.5, v10, v198
	v_fmamk_f32 v18, v11, 0x3f5db3d7, v10
	v_dual_fmac_f32 v10, 0xbf5db3d7, v11 :: v_dual_add_f32 v11, v45, v24
	s_delay_alu instid0(VALU_DEP_1) | instskip(NEXT) | instid1(VALU_DEP_1)
	v_fma_f32 v11, -0.5, v11, v199
	v_fmamk_f32 v19, v42, 0xbf5db3d7, v11
	v_fmac_f32_e32 v11, 0x3f5db3d7, v42
	ds_store_2addr_b64 v72, v[14:15], v[10:11] offset0:126 offset1:216
	v_dual_add_f32 v14, v12, v40 :: v_dual_add_f32 v15, v13, v41
	v_dual_add_f32 v10, v30, v32 :: v_dual_add_f32 v11, v31, v33
	;; [unrolled: 1-line block ×3, first 2 shown]
	ds_store_2addr_b64 v195, v[10:11], v[12:13] offset0:52 offset1:142
	ds_store_2addr_b64 v68, v[0:1], v[8:9] offset0:146 offset1:236
	v_dual_add_f32 v0, v180, v36 :: v_dual_add_f32 v1, v181, v37
	v_dual_add_f32 v8, v50, v38 :: v_dual_add_f32 v9, v51, v39
	ds_store_2addr_b64 v184, v[0:1], v[8:9] offset0:104 offset1:194
	ds_store_2addr_b64 v74, v[2:3], v[6:7] offset0:70 offset1:160
	v_add_f32_e32 v0, v14, v44
	v_dual_add_f32 v1, v15, v20 :: v_dual_add_f32 v2, v182, v21
	v_add_f32_e32 v3, v43, v22
	ds_store_2addr_b64 v58, v[4:5], v[18:19] offset0:122 offset1:212
	ds_store_2addr_b64 v242, v[0:1], v[2:3] offset0:28 offset1:118
	v_dual_add_f32 v0, v198, v23 :: v_dual_add_f32 v1, v199, v45
	v_dual_add_f32 v2, v200, v46 :: v_dual_add_f32 v3, v201, v47
	s_delay_alu instid0(VALU_DEP_2) | instskip(NEXT) | instid1(VALU_DEP_2)
	v_add_f32_e32 v0, v0, v48
	v_dual_add_f32 v1, v1, v24 :: v_dual_add_f32 v2, v2, v25
	s_delay_alu instid0(VALU_DEP_3) | instskip(SKIP_3) | instid1(VALU_DEP_2)
	v_add_f32_e32 v3, v3, v26
	ds_store_2addr_b64 v75, v[0:1], v[2:3] offset0:80 offset1:170
	v_dual_add_f32 v0, v46, v25 :: v_dual_sub_f32 v1, v47, v26
	v_sub_f32_e32 v2, v46, v25
	v_fma_f32 v200, -0.5, v0, v200
	v_add_f32_e32 v0, v47, v26
	s_delay_alu instid0(VALU_DEP_1) | instskip(NEXT) | instid1(VALU_DEP_1)
	v_dual_fmac_f32 v201, -0.5, v0 :: v_dual_fmamk_f32 v0, v1, 0x3f5db3d7, v200
	v_dual_fmac_f32 v200, 0xbf5db3d7, v1 :: v_dual_fmamk_f32 v1, v2, 0xbf5db3d7, v201
	v_fmac_f32_e32 v201, 0x3f5db3d7, v2
	ds_store_b64 v250, v[200:201] offset:20880
	ds_store_b64 v250, v[0:1] offset:13680
	global_wb scope:SCOPE_SE
	s_wait_storecnt_dscnt 0x0
	s_barrier_signal -1
	s_barrier_wait -1
	global_inv scope:SCOPE_SE
	s_clause 0x1
	global_load_b64 v[4:5], v250, s[8:9] offset:21600
	global_load_b64 v[48:49], v250, s[10:11] offset:20880
	ds_load_2addr_b64 v[0:3], v250 offset1:90
	s_wait_loadcnt_dscnt 0x100
	v_mul_f32_e32 v6, v1, v5
	v_mul_f32_e32 v9, v0, v5
	s_delay_alu instid0(VALU_DEP_2) | instskip(NEXT) | instid1(VALU_DEP_2)
	v_fma_f32 v8, v0, v4, -v6
	v_fmac_f32_e32 v9, v1, v4
	s_clause 0x3
	global_load_b64 v[0:1], v250, s[10:11] offset:720
	global_load_b64 v[4:5], v250, s[10:11] offset:1440
	;; [unrolled: 1-line block ×4, first 2 shown]
	ds_store_b64 v250, v[8:9]
	s_clause 0x3
	global_load_b64 v[8:9], v250, s[10:11] offset:7200
	global_load_b64 v[16:17], v250, s[10:11] offset:7920
	;; [unrolled: 1-line block ×4, first 2 shown]
	s_wait_loadcnt 0x7
	v_mul_f32_e32 v6, v3, v1
	v_mul_f32_e32 v41, v2, v1
	s_delay_alu instid0(VALU_DEP_2) | instskip(NEXT) | instid1(VALU_DEP_2)
	v_fma_f32 v40, v2, v0, -v6
	v_fmac_f32_e32 v41, v3, v0
	ds_load_2addr_b64 v[0:3], v196 offset0:132 offset1:222
	s_wait_loadcnt_dscnt 0x300
	v_mul_f32_e32 v6, v1, v9
	v_mul_f32_e32 v45, v0, v9
	s_wait_loadcnt 0x2
	v_mul_f32_e32 v35, v2, v17
	v_mov_b32_e32 v193, v68
	v_fma_f32 v44, v0, v8, -v6
	v_mul_f32_e32 v0, v3, v17
	s_delay_alu instid0(VALU_DEP_4) | instskip(SKIP_1) | instid1(VALU_DEP_3)
	v_fmac_f32_e32 v35, v3, v16
	v_fmac_f32_e32 v45, v1, v8
	v_fma_f32 v34, v2, v16, -v0
	s_clause 0x1
	global_load_b64 v[16:17], v250, s[10:11] offset:14400
	global_load_b64 v[36:37], v250, s[10:11] offset:13680
	ds_load_2addr_b64 v[0:3], v191 offset0:8 offset1:98
	s_wait_loadcnt_dscnt 0x100
	v_mul_f32_e32 v6, v1, v17
	v_mul_f32_e32 v33, v0, v17
	s_delay_alu instid0(VALU_DEP_2) | instskip(NEXT) | instid1(VALU_DEP_2)
	v_fma_f32 v32, v0, v16, -v6
	v_fmac_f32_e32 v33, v1, v16
	s_clause 0x3
	global_load_b64 v[0:1], v250, s[10:11] offset:15120
	global_load_b64 v[16:17], v250, s[10:11] offset:15840
	global_load_b64 v[28:29], v250, s[10:11] offset:16560
	global_load_b64 v[180:181], v250, s[10:11] offset:17280
	s_wait_loadcnt 0x3
	v_mul_f32_e32 v6, v3, v1
	v_mul_f32_e32 v183, v2, v1
	s_delay_alu instid0(VALU_DEP_2) | instskip(NEXT) | instid1(VALU_DEP_2)
	v_fma_f32 v182, v2, v0, -v6
	v_fmac_f32_e32 v183, v3, v0
	ds_load_2addr_b64 v[0:3], v195 offset0:52 offset1:142
	s_wait_dscnt 0x0
	v_mul_f32_e32 v6, v1, v5
	v_mul_f32_e32 v199, v0, v5
	v_mul_f32_e32 v31, v2, v11
	s_delay_alu instid0(VALU_DEP_3) | instskip(NEXT) | instid1(VALU_DEP_3)
	v_fma_f32 v198, v0, v4, -v6
	v_dual_mul_f32 v0, v3, v11 :: v_dual_fmac_f32 v199, v1, v4
	s_delay_alu instid0(VALU_DEP_3) | instskip(NEXT) | instid1(VALU_DEP_2)
	v_fmac_f32_e32 v31, v3, v10
	v_fma_f32 v30, v2, v10, -v0
	ds_load_2addr_b64 v[0:3], v68 offset0:56 offset1:146
	s_wait_dscnt 0x0
	v_mul_f32_e32 v4, v1, v19
	v_mul_f32_e32 v27, v0, v19
	s_delay_alu instid0(VALU_DEP_2) | instskip(NEXT) | instid1(VALU_DEP_2)
	v_fma_f32 v26, v0, v18, -v4
	v_fmac_f32_e32 v27, v1, v18
	s_clause 0x3
	global_load_b64 v[0:1], v250, s[10:11] offset:9360
	global_load_b64 v[18:19], v250, s[10:11] offset:10080
	global_load_b64 v[200:201], v250, s[10:11] offset:10800
	global_load_b64 v[251:252], v250, s[10:11] offset:11520
	s_wait_loadcnt 0x3
	v_mul_f32_e32 v4, v3, v1
	v_mul_f32_e32 v254, v2, v1
	s_delay_alu instid0(VALU_DEP_2) | instskip(NEXT) | instid1(VALU_DEP_2)
	v_fma_f32 v253, v2, v0, -v4
	v_fmac_f32_e32 v254, v3, v0
	ds_load_2addr_b64 v[0:3], v186 offset0:60 offset1:150
	s_wait_dscnt 0x0
	v_mul_f32_e32 v4, v1, v17
	v_mul_f32_e32 v25, v0, v17
	v_mul_f32_e32 v23, v2, v29
	s_delay_alu instid0(VALU_DEP_3) | instskip(NEXT) | instid1(VALU_DEP_3)
	v_fma_f32 v24, v0, v16, -v4
	v_dual_mul_f32 v0, v3, v29 :: v_dual_fmac_f32 v25, v1, v16
	s_delay_alu instid0(VALU_DEP_3) | instskip(NEXT) | instid1(VALU_DEP_2)
	v_fmac_f32_e32 v23, v3, v28
	v_fma_f32 v22, v2, v28, -v0
	ds_load_2addr_b64 v[0:3], v184 offset0:104 offset1:194
	s_wait_dscnt 0x0
	;; [unrolled: 29-line block ×4, first 2 shown]
	v_mul_f32_e32 v6, v1, v252
	v_mul_f32_e32 v9, v0, v252
	s_delay_alu instid0(VALU_DEP_2) | instskip(NEXT) | instid1(VALU_DEP_2)
	v_fma_f32 v8, v0, v251, -v6
	v_fmac_f32_e32 v9, v1, v251
	s_clause 0x1
	global_load_b64 v[0:1], v250, s[10:11] offset:12240
	global_load_b64 v[251:252], v250, s[10:11] offset:12960
	s_wait_loadcnt 0x1
	v_mul_f32_e32 v6, v3, v1
	v_mul_f32_e32 v7, v2, v1
	s_delay_alu instid0(VALU_DEP_2) | instskip(NEXT) | instid1(VALU_DEP_2)
	v_fma_f32 v6, v2, v0, -v6
	v_fmac_f32_e32 v7, v3, v0
	ds_load_2addr_b64 v[0:3], v72 offset0:36 offset1:126
	s_wait_dscnt 0x0
	v_mul_f32_e32 v50, v1, v181
	v_mul_f32_e32 v51, v0, v181
	;; [unrolled: 1-line block ×3, first 2 shown]
	s_delay_alu instid0(VALU_DEP_3) | instskip(NEXT) | instid1(VALU_DEP_3)
	v_fma_f32 v50, v0, v180, -v50
	v_dual_mul_f32 v0, v3, v5 :: v_dual_fmac_f32 v51, v1, v180
	s_delay_alu instid0(VALU_DEP_3) | instskip(NEXT) | instid1(VALU_DEP_2)
	v_fmac_f32_e32 v181, v3, v4
	v_fma_f32 v180, v2, v4, -v0
	ds_load_2addr_b64 v[0:3], v75 offset0:80 offset1:170
	s_wait_dscnt 0x0
	v_mul_f32_e32 v4, v1, v15
	v_mul_f32_e32 v5, v0, v15
	;; [unrolled: 1-line block ×3, first 2 shown]
	s_delay_alu instid0(VALU_DEP_3) | instskip(NEXT) | instid1(VALU_DEP_3)
	v_fma_f32 v4, v0, v14, -v4
	v_dual_mul_f32 v0, v3, v39 :: v_dual_fmac_f32 v5, v1, v14
	s_delay_alu instid0(VALU_DEP_3) | instskip(NEXT) | instid1(VALU_DEP_2)
	v_fmac_f32_e32 v15, v3, v38
	v_fma_f32 v14, v2, v38, -v0
	ds_load_2addr_b64 v[0:3], v73 offset0:84 offset1:174
	s_wait_loadcnt_dscnt 0x0
	v_mul_f32_e32 v38, v1, v252
	v_dual_mul_f32 v39, v0, v252 :: v_dual_mul_f32 v252, v2, v37
	s_delay_alu instid0(VALU_DEP_2) | instskip(NEXT) | instid1(VALU_DEP_2)
	v_fma_f32 v38, v0, v251, -v38
	v_dual_mul_f32 v0, v3, v37 :: v_dual_fmac_f32 v39, v1, v251
	s_delay_alu instid0(VALU_DEP_3) | instskip(NEXT) | instid1(VALU_DEP_2)
	v_fmac_f32_e32 v252, v3, v36
	v_fma_f32 v251, v2, v36, -v0
	ds_load_2addr_b64 v[0:3], v185 offset0:88 offset1:178
	s_wait_dscnt 0x0
	v_mul_f32_e32 v36, v1, v43
	v_mul_f32_e32 v37, v0, v43
	s_delay_alu instid0(VALU_DEP_2) | instskip(NEXT) | instid1(VALU_DEP_2)
	v_fma_f32 v36, v0, v42, -v36
	v_dual_mul_f32 v0, v3, v49 :: v_dual_fmac_f32 v37, v1, v42
	v_mul_f32_e32 v1, v2, v49
	s_delay_alu instid0(VALU_DEP_2) | instskip(NEXT) | instid1(VALU_DEP_2)
	v_fma_f32 v0, v2, v48, -v0
	v_dual_fmac_f32 v1, v3, v48 :: v_dual_add_nc_u32 v2, 0xc00, v250
	ds_store_2addr_b64 v2, v[16:17], v[46:47] offset0:66 offset1:156
	v_add_nc_u32_e32 v2, 0x3400, v250
	ds_store_2addr_b64 v2, v[251:252], v[32:33] offset0:46 offset1:136
	ds_store_2addr_b64 v250, v[40:41], v[198:199] offset0:90 offset1:180
	;; [unrolled: 1-line block ×13, first 2 shown]
	ds_store_b64 v250, v[0:1] offset:20880
	global_wb scope:SCOPE_SE
	s_wait_dscnt 0x0
	s_barrier_signal -1
	s_barrier_wait -1
	global_inv scope:SCOPE_SE
	ds_load_2addr_b64 v[0:3], v250 offset1:90
	ds_load_2addr_b64 v[4:7], v196 offset0:132 offset1:222
	ds_load_2addr_b64 v[8:11], v191 offset0:8 offset1:98
	v_mov_b32_e32 v184, v186
	s_wait_dscnt 0x1
	v_add_f32_e32 v12, v0, v4
	s_wait_dscnt 0x0
	v_dual_add_f32 v56, v4, v8 :: v_dual_sub_f32 v45, v5, v9
	v_add_f32_e32 v13, v1, v5
	v_dual_add_f32 v50, v5, v9 :: v_dual_sub_f32 v47, v4, v8
	v_dual_add_f32 v4, v2, v6 :: v_dual_add_f32 v5, v3, v7
	v_add_f32_e32 v68, v6, v10
	v_sub_f32_e32 v44, v7, v11
	v_dual_add_f32 v64, v7, v11 :: v_dual_sub_f32 v51, v6, v10
	v_dual_add_f32 v48, v12, v8 :: v_dual_add_f32 v49, v13, v9
	v_dual_add_f32 v30, v4, v10 :: v_dual_add_f32 v31, v5, v11
	ds_load_2addr_b64 v[4:7], v195 offset0:52 offset1:142
	ds_load_2addr_b64 v[8:11], v193 offset0:56 offset1:146
	;; [unrolled: 1-line block ×3, first 2 shown]
	v_mov_b32_e32 v186, v53
	v_fma_f32 v0, -0.5, v56, v0
	v_fma_f32 v1, -0.5, v50, v1
	;; [unrolled: 1-line block ×3, first 2 shown]
	v_fmac_f32_e32 v3, -0.5, v64
	s_wait_dscnt 0x1
	v_add_f32_e32 v16, v4, v8
	s_wait_dscnt 0x0
	v_dual_add_f32 v180, v8, v12 :: v_dual_sub_f32 v181, v9, v13
	v_add_f32_e32 v17, v5, v9
	v_dual_add_f32 v182, v9, v13 :: v_dual_sub_f32 v183, v8, v12
	v_dual_add_f32 v8, v6, v10 :: v_dual_add_f32 v9, v7, v11
	v_add_f32_e32 v188, v10, v14
	v_sub_f32_e32 v190, v11, v15
	v_add_f32_e32 v192, v11, v15
	v_sub_f32_e32 v194, v10, v14
	v_dual_add_f32 v32, v16, v12 :: v_dual_add_f32 v33, v17, v13
	v_dual_add_f32 v34, v8, v14 :: v_dual_add_f32 v35, v9, v15
	ds_load_2addr_b64 v[8:11], v189 offset0:104 offset1:194
	ds_load_2addr_b64 v[12:15], v187 offset0:108 offset1:198
	;; [unrolled: 1-line block ×3, first 2 shown]
	v_fma_f32 v6, -0.5, v188, v6
	v_fmac_f32_e32 v7, -0.5, v192
	s_wait_dscnt 0x1
	v_add_f32_e32 v20, v8, v12
	s_wait_dscnt 0x0
	v_dual_add_f32 v198, v12, v16 :: v_dual_sub_f32 v199, v13, v17
	v_add_f32_e32 v21, v9, v13
	v_dual_add_f32 v200, v13, v17 :: v_dual_sub_f32 v201, v12, v16
	v_dual_add_f32 v12, v10, v14 :: v_dual_add_f32 v13, v11, v15
	v_dual_add_f32 v251, v14, v18 :: v_dual_sub_f32 v252, v15, v19
	v_dual_add_f32 v253, v15, v19 :: v_dual_sub_f32 v254, v14, v18
	v_dual_add_f32 v36, v20, v16 :: v_dual_add_f32 v37, v21, v17
	s_delay_alu instid0(VALU_DEP_4)
	v_dual_add_f32 v38, v12, v18 :: v_dual_add_f32 v39, v13, v19
	ds_load_2addr_b64 v[12:15], v242 offset0:28 offset1:118
	ds_load_2addr_b64 v[16:19], v74 offset0:160 offset1:250
	;; [unrolled: 1-line block ×3, first 2 shown]
	v_fma_f32 v10, -0.5, v251, v10
	s_wait_dscnt 0x1
	v_dual_fmac_f32 v11, -0.5, v253 :: v_dual_add_f32 v24, v12, v16
	s_wait_dscnt 0x0
	v_dual_add_f32 v52, v16, v20 :: v_dual_sub_f32 v53, v17, v21
	v_add_f32_e32 v25, v13, v17
	v_dual_add_f32 v54, v17, v21 :: v_dual_sub_f32 v55, v16, v20
	v_dual_add_f32 v16, v14, v18 :: v_dual_add_f32 v17, v15, v19
	v_dual_add_f32 v60, v18, v22 :: v_dual_sub_f32 v57, v19, v23
	v_dual_add_f32 v58, v19, v23 :: v_dual_sub_f32 v59, v18, v22
	v_dual_add_f32 v40, v24, v20 :: v_dual_add_f32 v41, v25, v21
	s_delay_alu instid0(VALU_DEP_4)
	v_dual_add_f32 v42, v16, v22 :: v_dual_add_f32 v43, v17, v23
	ds_load_2addr_b64 v[16:19], v75 offset0:80 offset1:170
	ds_load_2addr_b64 v[20:23], v73 offset0:84 offset1:174
	;; [unrolled: 1-line block ×3, first 2 shown]
	global_wb scope:SCOPE_SE
	s_wait_dscnt 0x0
	s_barrier_signal -1
	s_barrier_wait -1
	global_inv scope:SCOPE_SE
	v_fma_f32 v14, -0.5, v60, v14
	v_fmac_f32_e32 v15, -0.5, v58
	v_add_f32_e32 v66, v18, v22
	v_add_f32_e32 v67, v22, v26
	v_dual_sub_f32 v71, v22, v26 :: v_dual_add_f32 v28, v16, v20
	s_delay_alu instid0(VALU_DEP_3)
	v_dual_add_f32 v63, v17, v21 :: v_dual_add_f32 v22, v66, v26
	scratch_load_b32 v26, off, off offset:260 th:TH_LOAD_LU ; 4-byte Folded Reload
	v_dual_add_f32 v61, v20, v24 :: v_dual_sub_f32 v62, v21, v25
	v_dual_add_f32 v46, v21, v25 :: v_dual_sub_f32 v65, v20, v24
	v_dual_add_f32 v20, v28, v24 :: v_dual_add_f32 v21, v63, v25
	v_fmamk_f32 v24, v45, 0xbf5db3d7, v0
	v_dual_fmamk_f32 v25, v47, 0x3f5db3d7, v1 :: v_dual_fmac_f32 v0, 0x3f5db3d7, v45
	v_fmac_f32_e32 v1, 0xbf5db3d7, v47
	s_wait_loadcnt 0x0
	ds_store_2addr_b64 v26, v[48:49], v[24:25] offset1:1
	ds_store_b64 v26, v[0:1] offset:16
	scratch_load_b32 v24, off, off offset:256 th:TH_LOAD_LU ; 4-byte Folded Reload
	v_fmamk_f32 v0, v44, 0xbf5db3d7, v2
	v_dual_fmamk_f32 v1, v51, 0x3f5db3d7, v3 :: v_dual_fmac_f32 v2, 0x3f5db3d7, v44
	v_fmac_f32_e32 v3, 0xbf5db3d7, v51
	s_wait_loadcnt 0x0
	ds_store_2addr_b64 v24, v[30:31], v[0:1] offset1:1
	ds_store_b64 v24, v[2:3] offset:16
	v_fma_f32 v0, -0.5, v180, v4
	scratch_load_b32 v4, off, off offset:252 th:TH_LOAD_LU ; 4-byte Folded Reload
	v_fma_f32 v1, -0.5, v182, v5
	v_add_f32_e32 v70, v23, v27
	v_dual_sub_f32 v29, v23, v27 :: v_dual_fmamk_f32 v2, v181, 0xbf5db3d7, v0
	s_delay_alu instid0(VALU_DEP_3)
	v_dual_fmac_f32 v0, 0x3f5db3d7, v181 :: v_dual_fmamk_f32 v3, v183, 0x3f5db3d7, v1
	v_fmac_f32_e32 v1, 0xbf5db3d7, v183
	s_wait_loadcnt 0x0
	ds_store_2addr_b64 v4, v[32:33], v[2:3] offset1:1
	ds_store_b64 v4, v[0:1] offset:16
	v_fmamk_f32 v0, v190, 0xbf5db3d7, v6
	v_dual_fmamk_f32 v1, v194, 0x3f5db3d7, v7 :: v_dual_fmac_f32 v6, 0x3f5db3d7, v190
	v_fmac_f32_e32 v7, 0xbf5db3d7, v194
	ds_store_2addr_b64 v255, v[34:35], v[0:1] offset1:1
	ds_store_b64 v255, v[6:7] offset:16
	v_fma_f32 v0, -0.5, v198, v8
	v_fma_f32 v1, -0.5, v200, v9
	v_add_f32_e32 v69, v19, v23
	v_fma_f32 v18, -0.5, v67, v18
	s_delay_alu instid0(VALU_DEP_4) | instskip(NEXT) | instid1(VALU_DEP_4)
	v_dual_fmac_f32 v19, -0.5, v70 :: v_dual_fmamk_f32 v2, v199, 0xbf5db3d7, v0
	v_dual_fmamk_f32 v3, v201, 0x3f5db3d7, v1 :: v_dual_fmac_f32 v0, 0x3f5db3d7, v199
	v_fmac_f32_e32 v1, 0xbf5db3d7, v201
	ds_store_2addr_b64 v249, v[36:37], v[2:3] offset1:1
	ds_store_b64 v249, v[0:1] offset:16
	scratch_load_b32 v2, off, off offset:484 th:TH_LOAD_LU ; 4-byte Folded Reload
	v_fmamk_f32 v0, v252, 0xbf5db3d7, v10
	v_dual_fmamk_f32 v1, v254, 0x3f5db3d7, v11 :: v_dual_fmac_f32 v10, 0x3f5db3d7, v252
	v_fmac_f32_e32 v11, 0xbf5db3d7, v254
	s_wait_loadcnt 0x0
	ds_store_2addr_b64 v2, v[38:39], v[0:1] offset1:1
	ds_store_b64 v2, v[10:11] offset:16
	scratch_load_b32 v4, off, off offset:468 th:TH_LOAD_LU ; 4-byte Folded Reload
	v_fma_f32 v0, -0.5, v52, v12
	v_fma_f32 v1, -0.5, v54, v13
	v_dual_add_f32 v23, v69, v27 :: v_dual_mov_b32 v38, v196
	s_delay_alu instid0(VALU_DEP_3) | instskip(NEXT) | instid1(VALU_DEP_3)
	v_fmamk_f32 v2, v53, 0xbf5db3d7, v0
	v_dual_fmamk_f32 v3, v55, 0x3f5db3d7, v1 :: v_dual_fmac_f32 v0, 0x3f5db3d7, v53
	v_fmac_f32_e32 v1, 0xbf5db3d7, v55
	s_wait_loadcnt 0x0
	ds_store_2addr_b64 v4, v[40:41], v[2:3] offset1:1
	ds_store_b64 v4, v[0:1] offset:16
	scratch_load_b32 v2, off, off offset:464 th:TH_LOAD_LU ; 4-byte Folded Reload
	v_fmamk_f32 v0, v57, 0xbf5db3d7, v14
	v_dual_fmamk_f32 v1, v59, 0x3f5db3d7, v15 :: v_dual_fmac_f32 v14, 0x3f5db3d7, v57
	v_fmac_f32_e32 v15, 0xbf5db3d7, v59
	s_wait_loadcnt 0x0
	ds_store_2addr_b64 v2, v[42:43], v[0:1] offset1:1
	ds_store_b64 v2, v[14:15] offset:16
	scratch_load_b32 v4, off, off offset:460 th:TH_LOAD_LU ; 4-byte Folded Reload
	v_fma_f32 v0, -0.5, v61, v16
	v_fma_f32 v1, -0.5, v46, v17
	v_add_nc_u32_e32 v61, 0x1c00, v250
	s_delay_alu instid0(VALU_DEP_3) | instskip(NEXT) | instid1(VALU_DEP_3)
	v_fmamk_f32 v2, v62, 0xbf5db3d7, v0
	v_dual_fmamk_f32 v3, v65, 0x3f5db3d7, v1 :: v_dual_fmac_f32 v0, 0x3f5db3d7, v62
	v_fmac_f32_e32 v1, 0xbf5db3d7, v65
	s_wait_loadcnt 0x0
	ds_store_2addr_b64 v4, v[20:21], v[2:3] offset1:1
	ds_store_b64 v4, v[0:1] offset:16
	scratch_load_b32 v2, off, off offset:456 th:TH_LOAD_LU ; 4-byte Folded Reload
	v_fmamk_f32 v0, v29, 0xbf5db3d7, v18
	v_dual_fmamk_f32 v1, v71, 0x3f5db3d7, v19 :: v_dual_fmac_f32 v18, 0x3f5db3d7, v29
	v_fmac_f32_e32 v19, 0xbf5db3d7, v71
	s_wait_loadcnt 0x0
	ds_store_2addr_b64 v2, v[22:23], v[0:1] offset1:1
	ds_store_b64 v2, v[18:19] offset:16
	global_wb scope:SCOPE_SE
	s_wait_dscnt 0x0
	s_barrier_signal -1
	s_barrier_wait -1
	global_inv scope:SCOPE_SE
	ds_load_2addr_b64 v[0:3], v185 offset0:88 offset1:178
	v_mov_b32_e32 v65, v185
	s_wait_dscnt 0x0
	v_mul_f32_e32 v249, v246, v1
	v_mul_f32_e32 v185, v248, v3
	s_delay_alu instid0(VALU_DEP_2) | instskip(NEXT) | instid1(VALU_DEP_2)
	v_fmac_f32_e32 v249, v245, v0
	v_dual_mul_f32 v0, v246, v0 :: v_dual_fmac_f32 v185, v247, v2
	s_delay_alu instid0(VALU_DEP_1) | instskip(SKIP_1) | instid1(VALU_DEP_1)
	v_fma_f32 v245, v245, v1, -v0
	v_mul_f32_e32 v0, v248, v2
	v_fma_f32 v35, v247, v3, -v0
	ds_load_2addr_b64 v[0:3], v72 offset0:36 offset1:126
	s_wait_dscnt 0x0
	v_dual_mul_f32 v246, v244, v3 :: v_dual_mul_f32 v183, v175, v1
	s_delay_alu instid0(VALU_DEP_1) | instskip(NEXT) | instid1(VALU_DEP_2)
	v_fmac_f32_e32 v246, v243, v2
	v_dual_mul_f32 v2, v244, v2 :: v_dual_fmac_f32 v183, v174, v0
	v_mul_f32_e32 v0, v175, v0
	s_delay_alu instid0(VALU_DEP_2) | instskip(NEXT) | instid1(VALU_DEP_2)
	v_fma_f32 v244, v243, v3, -v2
	v_fma_f32 v175, v174, v1, -v0
	ds_load_2addr_b64 v[0:3], v184 offset0:60 offset1:150
	s_wait_dscnt 0x0
	v_mul_f32_e32 v174, v173, v3
	s_delay_alu instid0(VALU_DEP_1) | instskip(SKIP_2) | instid1(VALU_DEP_2)
	v_fmac_f32_e32 v174, v172, v2
	v_mul_f32_e32 v2, v173, v2
	v_mul_f32_e32 v173, v165, v1
	v_fma_f32 v172, v172, v3, -v2
	s_delay_alu instid0(VALU_DEP_2) | instskip(SKIP_1) | instid1(VALU_DEP_1)
	v_fmac_f32_e32 v173, v164, v0
	v_mul_f32_e32 v0, v165, v0
	v_fma_f32 v164, v164, v1, -v0
	ds_load_2addr_b64 v[0:3], v186 offset0:112 offset1:202
	s_wait_dscnt 0x0
	v_mul_f32_e32 v243, v167, v3
	v_mul_f32_e32 v255, v159, v1
	s_delay_alu instid0(VALU_DEP_2) | instskip(NEXT) | instid1(VALU_DEP_2)
	v_fmac_f32_e32 v243, v166, v2
	v_dual_mul_f32 v2, v167, v2 :: v_dual_fmac_f32 v255, v158, v0
	v_mul_f32_e32 v0, v159, v0
	s_delay_alu instid0(VALU_DEP_2) | instskip(NEXT) | instid1(VALU_DEP_2)
	v_fma_f32 v165, v166, v3, -v2
	v_fma_f32 v254, v158, v1, -v0
	ds_load_2addr_b64 v[0:3], v191 offset0:8 offset1:98
	s_wait_dscnt 0x0
	v_mul_f32_e32 v248, v157, v3
	s_delay_alu instid0(VALU_DEP_1) | instskip(SKIP_1) | instid1(VALU_DEP_1)
	v_fmac_f32_e32 v248, v156, v2
	v_mul_f32_e32 v2, v157, v2
	v_fma_f32 v247, v156, v3, -v2
	v_mul_f32_e32 v156, v171, v1
	s_delay_alu instid0(VALU_DEP_1) | instskip(SKIP_1) | instid1(VALU_DEP_1)
	v_fmac_f32_e32 v156, v170, v0
	v_mul_f32_e32 v0, v171, v0
	v_fma_f32 v157, v170, v1, -v0
	ds_load_2addr_b64 v[0:3], v74 offset0:160 offset1:250
	s_wait_dscnt 0x0
	v_mul_f32_e32 v158, v169, v3
	v_mul_f32_e32 v166, v153, v1
	s_delay_alu instid0(VALU_DEP_2) | instskip(SKIP_1) | instid1(VALU_DEP_3)
	v_fmac_f32_e32 v158, v168, v2
	v_mul_f32_e32 v2, v169, v2
	v_fmac_f32_e32 v166, v152, v0
	v_mul_f32_e32 v0, v153, v0
	s_delay_alu instid0(VALU_DEP_3) | instskip(NEXT) | instid1(VALU_DEP_2)
	v_fma_f32 v159, v168, v3, -v2
	v_fma_f32 v152, v152, v1, -v0
	ds_load_2addr_b64 v[0:3], v73 offset0:84 offset1:174
	s_wait_dscnt 0x0
	v_mul_f32_e32 v167, v155, v3
	v_mul_f32_e32 v171, v147, v1
	s_delay_alu instid0(VALU_DEP_2) | instskip(NEXT) | instid1(VALU_DEP_2)
	v_fmac_f32_e32 v167, v154, v2
	v_dual_mul_f32 v2, v155, v2 :: v_dual_fmac_f32 v171, v146, v0
	v_mul_f32_e32 v0, v147, v0
	s_delay_alu instid0(VALU_DEP_2) | instskip(NEXT) | instid1(VALU_DEP_2)
	v_fma_f32 v153, v154, v3, -v2
	v_fma_f32 v170, v146, v1, -v0
	ds_load_2addr_b64 v[0:3], v187 offset0:108 offset1:198
	v_sub_f32_e32 v28, v153, v165
	s_wait_dscnt 0x0
	v_mul_f32_e32 v169, v145, v3
	s_delay_alu instid0(VALU_DEP_1) | instskip(SKIP_1) | instid1(VALU_DEP_1)
	v_fmac_f32_e32 v169, v144, v2
	v_mul_f32_e32 v2, v145, v2
	v_fma_f32 v168, v144, v3, -v2
	v_mul_f32_e32 v144, v163, v1
	s_delay_alu instid0(VALU_DEP_2) | instskip(NEXT) | instid1(VALU_DEP_2)
	v_sub_f32_e32 v192, v168, v247
	v_fmac_f32_e32 v144, v162, v0
	v_mul_f32_e32 v0, v163, v0
	s_delay_alu instid0(VALU_DEP_1) | instskip(SKIP_3) | instid1(VALU_DEP_1)
	v_fma_f32 v147, v162, v1, -v0
	ds_load_2addr_b64 v[0:3], v196 offset0:132 offset1:222
	s_wait_dscnt 0x0
	v_mul_f32_e32 v145, v161, v3
	v_dual_mul_f32 v154, v141, v1 :: v_dual_fmac_f32 v145, v160, v2
	v_mul_f32_e32 v2, v161, v2
	s_delay_alu instid0(VALU_DEP_2) | instskip(SKIP_1) | instid1(VALU_DEP_3)
	v_fmac_f32_e32 v154, v140, v0
	v_mul_f32_e32 v0, v141, v0
	v_fma_f32 v146, v160, v3, -v2
	s_delay_alu instid0(VALU_DEP_2) | instskip(SKIP_4) | instid1(VALU_DEP_2)
	v_fma_f32 v140, v140, v1, -v0
	ds_load_2addr_b64 v[0:3], v193 offset0:56 offset1:146
	s_wait_dscnt 0x0
	v_dual_sub_f32 v8, v169, v248 :: v_dual_mul_f32 v155, v143, v3
	v_mul_f32_e32 v163, v139, v1
	v_fmac_f32_e32 v155, v142, v2
	s_delay_alu instid0(VALU_DEP_2) | instskip(SKIP_1) | instid1(VALU_DEP_2)
	v_dual_mul_f32 v2, v143, v2 :: v_dual_fmac_f32 v163, v138, v0
	v_mul_f32_e32 v0, v139, v0
	v_fma_f32 v143, v142, v3, -v2
	s_delay_alu instid0(VALU_DEP_3) | instskip(NEXT) | instid1(VALU_DEP_3)
	v_sub_f32_e32 v15, v163, v171
	v_fma_f32 v162, v138, v1, -v0
	ds_load_2addr_b64 v[0:3], v75 offset0:80 offset1:170
	v_add_f32_e32 v12, v162, v170
	s_wait_dscnt 0x0
	v_dual_sub_f32 v182, v162, v170 :: v_dual_mul_f32 v161, v137, v3
	s_delay_alu instid0(VALU_DEP_1) | instskip(SKIP_1) | instid1(VALU_DEP_2)
	v_dual_mul_f32 v138, v151, v1 :: v_dual_fmac_f32 v161, v136, v2
	v_mul_f32_e32 v2, v137, v2
	v_fmac_f32_e32 v138, v150, v0
	v_mul_f32_e32 v0, v151, v0
	s_delay_alu instid0(VALU_DEP_4) | instskip(NEXT) | instid1(VALU_DEP_4)
	v_sub_f32_e32 v6, v161, v246
	v_fma_f32 v160, v136, v3, -v2
	s_delay_alu instid0(VALU_DEP_3) | instskip(SKIP_4) | instid1(VALU_DEP_1)
	v_fma_f32 v139, v150, v1, -v0
	ds_load_2addr_b64 v[0:3], v189 offset0:104 offset1:194
	v_sub_f32_e32 v194, v160, v244
	s_wait_dscnt 0x0
	v_mul_f32_e32 v136, v149, v3
	v_dual_mul_f32 v141, v133, v1 :: v_dual_fmac_f32 v136, v148, v2
	s_delay_alu instid0(VALU_DEP_1) | instskip(SKIP_1) | instid1(VALU_DEP_2)
	v_dual_mul_f32 v2, v149, v2 :: v_dual_fmac_f32 v141, v132, v0
	v_mul_f32_e32 v0, v133, v0
	v_fma_f32 v137, v148, v3, -v2
	s_delay_alu instid0(VALU_DEP_2) | instskip(SKIP_4) | instid1(VALU_DEP_2)
	v_fma_f32 v142, v132, v1, -v0
	ds_load_2addr_b64 v[0:3], v242 offset0:28 offset1:118
	s_wait_dscnt 0x0
	v_mul_f32_e32 v148, v135, v3
	v_mul_f32_e32 v252, v131, v1
	v_fmac_f32_e32 v148, v134, v2
	v_mul_f32_e32 v2, v135, v2
	s_delay_alu instid0(VALU_DEP_3) | instskip(NEXT) | instid1(VALU_DEP_2)
	v_fmac_f32_e32 v252, v130, v0
	v_fma_f32 v149, v134, v3, -v2
	v_mul_f32_e32 v0, v131, v0
	s_delay_alu instid0(VALU_DEP_3) | instskip(NEXT) | instid1(VALU_DEP_2)
	v_sub_f32_e32 v14, v252, v255
	v_fma_f32 v5, v130, v1, -v0
	ds_load_2addr_b64 v[130:133], v195 offset0:52 offset1:142
	s_wait_dscnt 0x0
	v_dual_sub_f32 v1, v255, v171 :: v_dual_mul_f32 v150, v129, v133
	v_mul_f32_e32 v0, v129, v132
	s_delay_alu instid0(VALU_DEP_2) | instskip(NEXT) | instid1(VALU_DEP_2)
	v_fmac_f32_e32 v150, v128, v132
	v_fma_f32 v129, v128, v133, -v0
	ds_load_2addr_b64 v[132:135], v250 offset1:90
	global_wb scope:SCOPE_SE
	s_wait_dscnt 0x0
	s_barrier_signal -1
	s_barrier_wait -1
	global_inv scope:SCOPE_SE
	scratch_load_b32 v37, off, off offset:452 th:TH_LOAD_LU ; 4-byte Folded Reload
	v_dual_sub_f32 v0, v252, v163 :: v_dual_add_f32 v11, v129, v160
	s_delay_alu instid0(VALU_DEP_1) | instskip(SKIP_1) | instid1(VALU_DEP_3)
	v_dual_add_f32 v181, v0, v1 :: v_dual_sub_f32 v0, v5, v162
	v_sub_f32_e32 v1, v254, v170
	v_add_f32_e32 v11, v11, v168
	s_delay_alu instid0(VALU_DEP_2) | instskip(SKIP_2) | instid1(VALU_DEP_4)
	v_add_f32_e32 v9, v0, v1
	v_dual_sub_f32 v0, v161, v169 :: v_dual_sub_f32 v1, v246, v248
	v_fma_f32 v198, -0.5, v12, v133
	v_add_f32_e32 v11, v11, v247
	s_delay_alu instid0(VALU_DEP_3) | instskip(SKIP_1) | instid1(VALU_DEP_3)
	v_add_f32_e32 v151, v0, v1
	v_sub_f32_e32 v0, v160, v168
	v_dual_sub_f32 v1, v244, v247 :: v_dual_add_f32 v18, v11, v244
	s_delay_alu instid0(VALU_DEP_1) | instskip(SKIP_1) | instid1(VALU_DEP_1)
	v_add_f32_e32 v190, v0, v1
	v_add_f32_e32 v0, v169, v248
	v_fma_f32 v188, -0.5, v0, v150
	v_add_f32_e32 v0, v168, v247
	s_delay_alu instid0(VALU_DEP_2) | instskip(NEXT) | instid1(VALU_DEP_2)
	v_fmamk_f32 v4, v194, 0xbf737871, v188
	v_fma_f32 v0, -0.5, v0, v129
	s_delay_alu instid0(VALU_DEP_2) | instskip(NEXT) | instid1(VALU_DEP_2)
	v_fmac_f32_e32 v4, 0xbf167918, v192
	v_fmamk_f32 v1, v6, 0x3f737871, v0
	s_delay_alu instid0(VALU_DEP_2) | instskip(NEXT) | instid1(VALU_DEP_2)
	v_fmac_f32_e32 v4, 0x3e9e377a, v151
	v_fmac_f32_e32 v1, 0x3f167918, v8
	s_delay_alu instid0(VALU_DEP_1) | instskip(NEXT) | instid1(VALU_DEP_1)
	v_fmac_f32_e32 v1, 0x3e9e377a, v190
	v_mul_f32_e32 v3, 0xbf167918, v1
	v_dual_mul_f32 v2, 0x3f4f1bbd, v1 :: v_dual_add_f32 v1, v132, v252
	s_delay_alu instid0(VALU_DEP_2) | instskip(NEXT) | instid1(VALU_DEP_2)
	v_fmac_f32_e32 v3, 0x3f4f1bbd, v4
	v_dual_fmac_f32 v2, 0x3f167918, v4 :: v_dual_add_f32 v1, v1, v163
	v_sub_f32_e32 v4, v5, v254
	s_delay_alu instid0(VALU_DEP_2) | instskip(NEXT) | instid1(VALU_DEP_1)
	v_add_f32_e32 v1, v1, v171
	v_add_f32_e32 v128, v1, v255
	;; [unrolled: 1-line block ×3, first 2 shown]
	s_delay_alu instid0(VALU_DEP_1) | instskip(SKIP_1) | instid1(VALU_DEP_1)
	v_fma_f32 v196, -0.5, v1, v132
	v_add_f32_e32 v1, v133, v5
	v_add_f32_e32 v7, v1, v162
	s_delay_alu instid0(VALU_DEP_3) | instskip(SKIP_1) | instid1(VALU_DEP_3)
	v_fmamk_f32 v1, v4, 0xbf737871, v196
	v_fmac_f32_e32 v196, 0x3f737871, v4
	v_dual_add_f32 v10, v7, v170 :: v_dual_add_f32 v7, v150, v161
	s_delay_alu instid0(VALU_DEP_3) | instskip(NEXT) | instid1(VALU_DEP_3)
	v_fmac_f32_e32 v1, 0xbf167918, v182
	v_fmac_f32_e32 v196, 0x3f167918, v182
	s_delay_alu instid0(VALU_DEP_3) | instskip(NEXT) | instid1(VALU_DEP_3)
	v_dual_add_f32 v16, v10, v254 :: v_dual_add_f32 v7, v7, v169
	v_fmac_f32_e32 v1, 0x3e9e377a, v181
	s_delay_alu instid0(VALU_DEP_2) | instskip(NEXT) | instid1(VALU_DEP_3)
	v_dual_fmac_f32 v196, 0x3e9e377a, v181 :: v_dual_add_f32 v11, v16, v18
	v_dual_add_f32 v12, v7, v248 :: v_dual_fmamk_f32 v7, v14, 0x3f737871, v198
	v_fmac_f32_e32 v198, 0xbf737871, v14
	s_delay_alu instid0(VALU_DEP_2) | instskip(NEXT) | instid1(VALU_DEP_2)
	v_fmac_f32_e32 v7, 0x3f167918, v15
	v_fmac_f32_e32 v198, 0xbf167918, v15
	s_delay_alu instid0(VALU_DEP_2) | instskip(SKIP_1) | instid1(VALU_DEP_2)
	v_fmac_f32_e32 v7, 0x3e9e377a, v9
	v_dual_add_f32 v17, v12, v246 :: v_dual_add_f32 v12, v1, v3
	v_dual_fmac_f32 v198, 0x3e9e377a, v9 :: v_dual_add_f32 v13, v7, v2
	s_delay_alu instid0(VALU_DEP_2)
	v_add_f32_e32 v10, v128, v17
	ds_store_2addr_b64 v197, v[10:11], v[12:13] offset1:3
	v_add_f32_e32 v12, v252, v255
	v_sub_f32_e32 v10, v163, v252
	v_sub_f32_e32 v11, v171, v255
	;; [unrolled: 1-line block ×3, first 2 shown]
	s_delay_alu instid0(VALU_DEP_4) | instskip(SKIP_1) | instid1(VALU_DEP_4)
	v_fma_f32 v19, -0.5, v12, v132
	v_add_f32_e32 v12, v161, v246
	v_add_f32_e32 v10, v10, v11
	v_sub_f32_e32 v11, v170, v254
	s_delay_alu instid0(VALU_DEP_4) | instskip(NEXT) | instid1(VALU_DEP_4)
	v_fmamk_f32 v20, v182, 0x3f737871, v19
	v_dual_fmac_f32 v19, 0xbf737871, v182 :: v_dual_fmac_f32 v150, -0.5, v12
	s_delay_alu instid0(VALU_DEP_2) | instskip(NEXT) | instid1(VALU_DEP_2)
	v_fmac_f32_e32 v20, 0xbf167918, v4
	v_fmac_f32_e32 v19, 0x3f167918, v4
	s_delay_alu instid0(VALU_DEP_3) | instskip(SKIP_1) | instid1(VALU_DEP_4)
	v_fmamk_f32 v12, v192, 0x3f737871, v150
	v_fmac_f32_e32 v150, 0xbf737871, v192
	v_fmac_f32_e32 v20, 0x3e9e377a, v10
	s_delay_alu instid0(VALU_DEP_4) | instskip(SKIP_3) | instid1(VALU_DEP_4)
	v_dual_fmac_f32 v19, 0x3e9e377a, v10 :: v_dual_sub_f32 v10, v162, v5
	v_add_f32_e32 v5, v5, v254
	v_fmac_f32_e32 v12, 0xbf167918, v194
	v_fmac_f32_e32 v150, 0x3f167918, v194
	v_add_f32_e32 v10, v10, v11
	s_delay_alu instid0(VALU_DEP_4) | instskip(NEXT) | instid1(VALU_DEP_1)
	v_fma_f32 v21, -0.5, v5, v133
	v_dual_sub_f32 v11, v169, v161 :: v_dual_fmamk_f32 v22, v15, 0xbf737871, v21
	v_fmac_f32_e32 v21, 0x3f737871, v15
	s_delay_alu instid0(VALU_DEP_2) | instskip(NEXT) | instid1(VALU_DEP_3)
	v_add_f32_e32 v5, v11, v13
	v_dual_sub_f32 v11, v247, v244 :: v_dual_fmac_f32 v22, 0x3f167918, v14
	s_delay_alu instid0(VALU_DEP_3) | instskip(NEXT) | instid1(VALU_DEP_3)
	v_fmac_f32_e32 v21, 0xbf167918, v14
	v_fmac_f32_e32 v12, 0x3e9e377a, v5
	;; [unrolled: 1-line block ×3, first 2 shown]
	s_delay_alu instid0(VALU_DEP_4) | instskip(NEXT) | instid1(VALU_DEP_4)
	v_fmac_f32_e32 v22, 0x3e9e377a, v10
	v_dual_fmac_f32 v21, 0x3e9e377a, v10 :: v_dual_add_f32 v10, v160, v244
	s_delay_alu instid0(VALU_DEP_1) | instskip(NEXT) | instid1(VALU_DEP_1)
	v_dual_fmac_f32 v129, -0.5, v10 :: v_dual_sub_f32 v10, v168, v160
	v_dual_add_f32 v5, v10, v11 :: v_dual_fmamk_f32 v10, v8, 0xbf737871, v129
	v_fmac_f32_e32 v129, 0x3f737871, v8
	s_delay_alu instid0(VALU_DEP_2) | instskip(NEXT) | instid1(VALU_DEP_2)
	v_fmac_f32_e32 v10, 0x3f167918, v6
	v_fmac_f32_e32 v129, 0xbf167918, v6
	s_delay_alu instid0(VALU_DEP_2) | instskip(NEXT) | instid1(VALU_DEP_2)
	v_fmac_f32_e32 v10, 0x3e9e377a, v5
	v_fmac_f32_e32 v129, 0x3e9e377a, v5
	s_delay_alu instid0(VALU_DEP_2) | instskip(NEXT) | instid1(VALU_DEP_2)
	v_mul_f32_e32 v23, 0xbf737871, v10
	v_mul_f32_e32 v25, 0xbf737871, v129
	;; [unrolled: 1-line block ×4, first 2 shown]
	s_delay_alu instid0(VALU_DEP_4) | instskip(NEXT) | instid1(VALU_DEP_4)
	v_fmac_f32_e32 v23, 0x3e9e377a, v12
	v_fmac_f32_e32 v25, 0xbe9e377a, v150
	;; [unrolled: 1-line block ×6, first 2 shown]
	v_add_f32_e32 v10, v20, v23
	v_fmac_f32_e32 v0, 0xbf167918, v8
	v_fmac_f32_e32 v188, 0x3f167918, v192
	v_dual_add_f32 v11, v22, v24 :: v_dual_add_f32 v12, v19, v25
	v_add_f32_e32 v13, v21, v26
	s_delay_alu instid0(VALU_DEP_4) | instskip(NEXT) | instid1(VALU_DEP_4)
	v_fmac_f32_e32 v0, 0x3e9e377a, v190
	v_fmac_f32_e32 v188, 0x3e9e377a, v151
	ds_store_2addr_b64 v197, v[10:11], v[12:13] offset0:6 offset1:9
	v_mul_f32_e32 v6, 0xbf167918, v0
	v_mul_f32_e32 v8, 0xbf4f1bbd, v0
	v_dual_sub_f32 v0, v1, v3 :: v_dual_sub_f32 v1, v7, v2
	v_sub_f32_e32 v2, v20, v23
	s_delay_alu instid0(VALU_DEP_4) | instskip(NEXT) | instid1(VALU_DEP_4)
	v_fmac_f32_e32 v6, 0xbf4f1bbd, v188
	v_fmac_f32_e32 v8, 0x3f167918, v188
	v_dual_sub_f32 v3, v22, v24 :: v_dual_sub_f32 v10, v128, v17
	v_sub_f32_e32 v11, v16, v18
	s_delay_alu instid0(VALU_DEP_3)
	v_dual_add_f32 v4, v196, v6 :: v_dual_add_f32 v5, v198, v8
	ds_store_2addr_b64 v197, v[0:1], v[2:3] offset0:18 offset1:21
	v_dual_sub_f32 v0, v19, v25 :: v_dual_sub_f32 v1, v21, v26
	v_dual_sub_f32 v2, v196, v6 :: v_dual_sub_f32 v3, v198, v8
	ds_store_2addr_b64 v197, v[4:5], v[10:11] offset0:12 offset1:15
	v_sub_f32_e32 v10, v154, v249
	v_dual_sub_f32 v11, v166, v173 :: v_dual_sub_f32 v22, v148, v243
	ds_store_2addr_b64 v197, v[0:1], v[2:3] offset0:24 offset1:27
	v_sub_f32_e32 v0, v148, v155
	v_sub_f32_e32 v1, v243, v167
	v_add_f32_e32 v3, v143, v153
	v_sub_f32_e32 v24, v155, v167
	v_sub_f32_e32 v12, v140, v245
	;; [unrolled: 1-line block ×3, first 2 shown]
	v_add_f32_e32 v4, v0, v1
	v_sub_f32_e32 v0, v149, v143
	v_sub_f32_e32 v1, v165, v153
	v_fma_f32 v21, -0.5, v3, v135
	v_sub_f32_e32 v18, v149, v165
	v_add_f32_e32 v2, v142, v140
	v_sub_f32_e32 v20, v143, v153
	v_dual_add_f32 v5, v0, v1 :: v_dual_sub_f32 v0, v154, v166
	v_sub_f32_e32 v1, v249, v173
	v_fmamk_f32 v23, v22, 0x3f737871, v21
	v_dual_add_f32 v2, v2, v152 :: v_dual_fmac_f32 v21, 0xbf737871, v22
	s_delay_alu instid0(VALU_DEP_3)
	v_add_f32_e32 v6, v0, v1
	v_sub_f32_e32 v0, v140, v152
	v_sub_f32_e32 v1, v245, v164
	v_fmac_f32_e32 v23, 0x3f167918, v24
	v_add_f32_e32 v2, v2, v164
	v_fmac_f32_e32 v21, 0xbf167918, v24
	s_delay_alu instid0(VALU_DEP_4) | instskip(SKIP_4) | instid1(VALU_DEP_4)
	v_add_f32_e32 v7, v0, v1
	v_add_f32_e32 v0, v166, v173
	v_fmac_f32_e32 v23, 0x3e9e377a, v5
	v_add_f32_e32 v27, v2, v245
	v_fmac_f32_e32 v21, 0x3e9e377a, v5
	v_fma_f32 v8, -0.5, v0, v141
	v_add_f32_e32 v0, v152, v164
	s_delay_alu instid0(VALU_DEP_2) | instskip(NEXT) | instid1(VALU_DEP_2)
	v_fmamk_f32 v1, v12, 0xbf737871, v8
	v_fma_f32 v9, -0.5, v0, v142
	v_fmac_f32_e32 v8, 0x3f737871, v12
	s_delay_alu instid0(VALU_DEP_3) | instskip(NEXT) | instid1(VALU_DEP_3)
	v_fmac_f32_e32 v1, 0xbf167918, v13
	v_fmamk_f32 v0, v10, 0x3f737871, v9
	v_fmac_f32_e32 v9, 0xbf737871, v10
	s_delay_alu instid0(VALU_DEP_4) | instskip(NEXT) | instid1(VALU_DEP_4)
	v_fmac_f32_e32 v8, 0x3f167918, v13
	v_fmac_f32_e32 v1, 0x3e9e377a, v6
	s_delay_alu instid0(VALU_DEP_4) | instskip(NEXT) | instid1(VALU_DEP_4)
	v_fmac_f32_e32 v0, 0x3f167918, v11
	v_fmac_f32_e32 v9, 0xbf167918, v11
	s_delay_alu instid0(VALU_DEP_4) | instskip(NEXT) | instid1(VALU_DEP_3)
	v_fmac_f32_e32 v8, 0x3e9e377a, v6
	v_fmac_f32_e32 v0, 0x3e9e377a, v7
	s_delay_alu instid0(VALU_DEP_3) | instskip(NEXT) | instid1(VALU_DEP_2)
	v_fmac_f32_e32 v9, 0x3e9e377a, v7
	v_mul_f32_e32 v14, 0xbf167918, v0
	v_mul_f32_e32 v15, 0x3f4f1bbd, v0
	s_delay_alu instid0(VALU_DEP_3) | instskip(NEXT) | instid1(VALU_DEP_3)
	v_dual_add_f32 v0, v134, v148 :: v_dual_mul_f32 v5, 0xbf4f1bbd, v9
	v_fmac_f32_e32 v14, 0x3f4f1bbd, v1
	s_delay_alu instid0(VALU_DEP_2) | instskip(SKIP_1) | instid1(VALU_DEP_4)
	v_dual_fmac_f32 v15, 0x3f167918, v1 :: v_dual_add_f32 v0, v0, v155
	v_add_f32_e32 v1, v141, v154
	v_fmac_f32_e32 v5, 0x3f167918, v8
	s_delay_alu instid0(VALU_DEP_3) | instskip(NEXT) | instid1(VALU_DEP_3)
	v_add_f32_e32 v3, v23, v15
	v_dual_add_f32 v0, v0, v167 :: v_dual_add_f32 v1, v1, v166
	s_delay_alu instid0(VALU_DEP_1) | instskip(NEXT) | instid1(VALU_DEP_2)
	v_add_f32_e32 v16, v0, v243
	v_dual_add_f32 v0, v155, v167 :: v_dual_add_f32 v1, v1, v173
	s_delay_alu instid0(VALU_DEP_1) | instskip(SKIP_1) | instid1(VALU_DEP_2)
	v_fma_f32 v17, -0.5, v0, v134
	v_add_f32_e32 v0, v135, v149
	v_dual_add_f32 v26, v1, v249 :: v_dual_fmamk_f32 v19, v18, 0xbf737871, v17
	s_delay_alu instid0(VALU_DEP_2) | instskip(NEXT) | instid1(VALU_DEP_1)
	v_dual_add_f32 v0, v0, v143 :: v_dual_fmac_f32 v17, 0x3f737871, v18
	v_dual_fmac_f32 v19, 0xbf167918, v20 :: v_dual_add_f32 v0, v0, v153
	s_delay_alu instid0(VALU_DEP_2) | instskip(NEXT) | instid1(VALU_DEP_2)
	v_fmac_f32_e32 v17, 0x3f167918, v20
	v_fmac_f32_e32 v19, 0x3e9e377a, v4
	s_delay_alu instid0(VALU_DEP_3) | instskip(NEXT) | instid1(VALU_DEP_3)
	v_add_f32_e32 v25, v0, v165
	v_dual_add_f32 v0, v16, v26 :: v_dual_fmac_f32 v17, 0x3e9e377a, v4
	v_mul_f32_e32 v4, 0xbf167918, v9
	s_delay_alu instid0(VALU_DEP_3) | instskip(NEXT) | instid1(VALU_DEP_2)
	v_dual_add_f32 v2, v19, v14 :: v_dual_add_f32 v1, v25, v27
	v_fmac_f32_e32 v4, 0xbf4f1bbd, v8
	s_wait_loadcnt 0x0
	ds_store_2addr_b64 v37, v[0:1], v[2:3] offset1:3
	v_add_f32_e32 v2, v148, v243
	v_sub_f32_e32 v0, v155, v148
	v_sub_f32_e32 v1, v167, v243
	v_add_f32_e32 v3, v149, v165
	s_delay_alu instid0(VALU_DEP_4) | instskip(SKIP_1) | instid1(VALU_DEP_4)
	v_fma_f32 v29, -0.5, v2, v134
	v_add_f32_e32 v2, v154, v249
	v_add_f32_e32 v0, v0, v1
	v_sub_f32_e32 v1, v143, v149
	v_fmac_f32_e32 v135, -0.5, v3
	v_fmamk_f32 v30, v20, 0x3f737871, v29
	v_fmac_f32_e32 v29, 0xbf737871, v20
	v_sub_f32_e32 v3, v173, v249
	v_dual_fmac_f32 v141, -0.5, v2 :: v_dual_sub_f32 v2, v164, v245
	s_delay_alu instid0(VALU_DEP_4) | instskip(NEXT) | instid1(VALU_DEP_4)
	v_fmac_f32_e32 v30, 0xbf167918, v18
	v_dual_fmac_f32 v29, 0x3f167918, v18 :: v_dual_sub_f32 v20, v147, v157
	s_delay_alu instid0(VALU_DEP_2) | instskip(NEXT) | instid1(VALU_DEP_2)
	v_fmac_f32_e32 v30, 0x3e9e377a, v0
	v_fmac_f32_e32 v29, 0x3e9e377a, v0
	v_add_f32_e32 v0, v1, v28
	v_fmamk_f32 v28, v24, 0xbf737871, v135
	v_fmac_f32_e32 v135, 0x3f737871, v24
	v_sub_f32_e32 v1, v166, v154
	s_delay_alu instid0(VALU_DEP_3) | instskip(NEXT) | instid1(VALU_DEP_3)
	v_fmac_f32_e32 v28, 0x3f167918, v22
	v_dual_fmac_f32 v135, 0xbf167918, v22 :: v_dual_sub_f32 v22, v138, v183
	s_delay_alu instid0(VALU_DEP_2) | instskip(NEXT) | instid1(VALU_DEP_2)
	v_fmac_f32_e32 v28, 0x3e9e377a, v0
	v_dual_fmac_f32 v135, 0x3e9e377a, v0 :: v_dual_add_f32 v0, v1, v3
	v_add_f32_e32 v1, v140, v245
	v_fmamk_f32 v3, v13, 0x3f737871, v141
	v_fmac_f32_e32 v141, 0xbf737871, v13
	s_delay_alu instid0(VALU_DEP_3) | instskip(SKIP_1) | instid1(VALU_DEP_4)
	v_dual_sub_f32 v13, v159, v172 :: v_dual_fmac_f32 v142, -0.5, v1
	v_sub_f32_e32 v1, v152, v140
	v_fmac_f32_e32 v3, 0xbf167918, v12
	s_delay_alu instid0(VALU_DEP_4) | instskip(NEXT) | instid1(VALU_DEP_2)
	v_dual_fmac_f32 v141, 0x3f167918, v12 :: v_dual_sub_f32 v12, v146, v35
	v_fmac_f32_e32 v3, 0x3e9e377a, v0
	s_delay_alu instid0(VALU_DEP_2) | instskip(SKIP_2) | instid1(VALU_DEP_2)
	v_dual_fmac_f32 v141, 0x3e9e377a, v0 :: v_dual_add_f32 v0, v1, v2
	v_fmamk_f32 v1, v11, 0xbf737871, v142
	v_dual_fmac_f32 v142, 0x3f737871, v11 :: v_dual_sub_f32 v11, v158, v174
	v_fmac_f32_e32 v1, 0x3f167918, v10
	s_delay_alu instid0(VALU_DEP_2) | instskip(NEXT) | instid1(VALU_DEP_2)
	v_fmac_f32_e32 v142, 0xbf167918, v10
	v_dual_sub_f32 v10, v145, v185 :: v_dual_fmac_f32 v1, 0x3e9e377a, v0
	s_delay_alu instid0(VALU_DEP_2) | instskip(NEXT) | instid1(VALU_DEP_2)
	v_fmac_f32_e32 v142, 0x3e9e377a, v0
	v_mul_f32_e32 v31, 0xbf737871, v1
	v_mul_f32_e32 v32, 0x3e9e377a, v1
	s_delay_alu instid0(VALU_DEP_3) | instskip(SKIP_1) | instid1(VALU_DEP_4)
	v_mul_f32_e32 v33, 0xbf737871, v142
	v_mul_f32_e32 v34, 0xbe9e377a, v142
	v_fmac_f32_e32 v31, 0x3e9e377a, v3
	s_delay_alu instid0(VALU_DEP_4) | instskip(NEXT) | instid1(VALU_DEP_4)
	v_fmac_f32_e32 v32, 0x3f737871, v3
	v_fmac_f32_e32 v33, 0xbe9e377a, v141
	s_delay_alu instid0(VALU_DEP_4) | instskip(NEXT) | instid1(VALU_DEP_3)
	v_fmac_f32_e32 v34, 0x3f737871, v141
	v_dual_add_f32 v0, v30, v31 :: v_dual_add_f32 v1, v28, v32
	s_delay_alu instid0(VALU_DEP_2)
	v_dual_add_f32 v2, v29, v33 :: v_dual_add_f32 v3, v135, v34
	ds_store_2addr_b64 v37, v[0:1], v[2:3] offset0:6 offset1:9
	v_dual_sub_f32 v0, v16, v26 :: v_dual_sub_f32 v1, v25, v27
	v_add_f32_e32 v2, v17, v4
	v_add_f32_e32 v3, v21, v5
	ds_store_2addr_b64 v37, v[2:3], v[0:1] offset0:12 offset1:15
	v_sub_f32_e32 v0, v19, v14
	v_sub_f32_e32 v1, v23, v15
	v_dual_sub_f32 v2, v30, v31 :: v_dual_sub_f32 v3, v28, v32
	v_sub_f32_e32 v19, v139, v175
	v_dual_sub_f32 v23, v144, v156 :: v_dual_sub_f32 v28, v174, v185
	v_add_f32_e32 v30, v146, v35
	ds_store_2addr_b64 v37, v[0:1], v[2:3] offset0:18 offset1:21
	v_dual_sub_f32 v1, v135, v34 :: v_dual_sub_f32 v0, v29, v33
	v_sub_f32_e32 v2, v17, v4
	v_sub_f32_e32 v3, v21, v5
	v_add_f32_e32 v17, v144, v156
	v_sub_f32_e32 v29, v159, v146
	v_sub_f32_e32 v31, v172, v35
	ds_store_2addr_b64 v37, v[0:1], v[2:3] offset0:24 offset1:27
	scratch_load_b32 v37, off, off offset:476 th:TH_LOAD_LU ; 4-byte Folded Reload
	v_sub_f32_e32 v0, v138, v144
	v_dual_sub_f32 v1, v183, v156 :: v_dual_add_f32 v2, v136, v145
	v_add_f32_e32 v3, v137, v146
	v_fma_f32 v17, -0.5, v17, v130
	s_delay_alu instid0(VALU_DEP_3)
	v_add_f32_e32 v4, v0, v1
	v_sub_f32_e32 v0, v139, v147
	v_dual_sub_f32 v1, v175, v157 :: v_dual_add_f32 v2, v2, v158
	v_add_f32_e32 v3, v3, v159
	v_fmamk_f32 v21, v19, 0xbf737871, v17
	v_fmac_f32_e32 v17, 0x3f737871, v19
	s_delay_alu instid0(VALU_DEP_4) | instskip(SKIP_3) | instid1(VALU_DEP_3)
	v_dual_add_f32 v5, v0, v1 :: v_dual_sub_f32 v0, v145, v158
	v_sub_f32_e32 v1, v185, v174
	v_dual_add_f32 v2, v2, v174 :: v_dual_add_f32 v3, v3, v172
	v_fmac_f32_e32 v21, 0xbf167918, v20
	v_dual_fmac_f32 v17, 0x3f167918, v20 :: v_dual_add_f32 v6, v0, v1
	v_dual_sub_f32 v0, v146, v159 :: v_dual_sub_f32 v1, v35, v172
	s_delay_alu instid0(VALU_DEP_4) | instskip(NEXT) | instid1(VALU_DEP_4)
	v_dual_add_f32 v26, v2, v185 :: v_dual_add_f32 v27, v3, v35
	v_fmac_f32_e32 v21, 0x3e9e377a, v4
	s_delay_alu instid0(VALU_DEP_4) | instskip(NEXT) | instid1(VALU_DEP_4)
	v_fmac_f32_e32 v17, 0x3e9e377a, v4
	v_dual_add_f32 v7, v0, v1 :: v_dual_add_f32 v0, v158, v174
	s_delay_alu instid0(VALU_DEP_1) | instskip(NEXT) | instid1(VALU_DEP_1)
	v_fma_f32 v8, -0.5, v0, v136
	v_dual_add_f32 v0, v159, v172 :: v_dual_fmamk_f32 v1, v12, 0xbf737871, v8
	s_delay_alu instid0(VALU_DEP_1) | instskip(SKIP_1) | instid1(VALU_DEP_3)
	v_fma_f32 v9, -0.5, v0, v137
	v_dual_fmac_f32 v137, -0.5, v30 :: v_dual_fmac_f32 v8, 0x3f737871, v12
	v_fmac_f32_e32 v1, 0xbf167918, v13
	s_delay_alu instid0(VALU_DEP_3) | instskip(SKIP_1) | instid1(VALU_DEP_4)
	v_fmamk_f32 v0, v10, 0x3f737871, v9
	v_fmac_f32_e32 v9, 0xbf737871, v10
	v_fmac_f32_e32 v8, 0x3f167918, v13
	s_delay_alu instid0(VALU_DEP_4) | instskip(NEXT) | instid1(VALU_DEP_4)
	v_fmac_f32_e32 v1, 0x3e9e377a, v6
	v_fmac_f32_e32 v0, 0x3f167918, v11
	s_delay_alu instid0(VALU_DEP_4) | instskip(NEXT) | instid1(VALU_DEP_4)
	v_fmac_f32_e32 v9, 0xbf167918, v11
	v_fmac_f32_e32 v8, 0x3e9e377a, v6
	s_delay_alu instid0(VALU_DEP_3) | instskip(NEXT) | instid1(VALU_DEP_3)
	v_fmac_f32_e32 v0, 0x3e9e377a, v7
	v_fmac_f32_e32 v9, 0x3e9e377a, v7
	s_delay_alu instid0(VALU_DEP_2) | instskip(SKIP_1) | instid1(VALU_DEP_3)
	v_mul_f32_e32 v14, 0xbf167918, v0
	v_dual_mul_f32 v15, 0x3f4f1bbd, v0 :: v_dual_add_f32 v0, v147, v157
	v_mul_f32_e32 v4, 0xbf167918, v9
	s_delay_alu instid0(VALU_DEP_3) | instskip(NEXT) | instid1(VALU_DEP_3)
	v_fmac_f32_e32 v14, 0x3f4f1bbd, v1
	v_fmac_f32_e32 v15, 0x3f167918, v1
	s_delay_alu instid0(VALU_DEP_4) | instskip(SKIP_1) | instid1(VALU_DEP_4)
	v_fma_f32 v16, -0.5, v0, v131
	v_dual_add_f32 v0, v130, v138 :: v_dual_add_f32 v1, v131, v139
	v_add_f32_e32 v2, v21, v14
	v_fmac_f32_e32 v4, 0xbf4f1bbd, v8
	s_delay_alu instid0(VALU_DEP_4) | instskip(NEXT) | instid1(VALU_DEP_4)
	v_fmamk_f32 v24, v22, 0x3f737871, v16
	v_dual_add_f32 v0, v0, v144 :: v_dual_add_f32 v1, v1, v147
	v_fmac_f32_e32 v16, 0xbf737871, v22
	s_delay_alu instid0(VALU_DEP_3) | instskip(NEXT) | instid1(VALU_DEP_3)
	v_fmac_f32_e32 v24, 0x3f167918, v23
	v_dual_add_f32 v0, v0, v156 :: v_dual_add_f32 v1, v1, v157
	s_delay_alu instid0(VALU_DEP_3) | instskip(NEXT) | instid1(VALU_DEP_3)
	v_fmac_f32_e32 v16, 0xbf167918, v23
	v_fmac_f32_e32 v24, 0x3e9e377a, v5
	s_delay_alu instid0(VALU_DEP_3) | instskip(NEXT) | instid1(VALU_DEP_3)
	v_add_f32_e32 v18, v0, v183
	v_dual_add_f32 v25, v1, v175 :: v_dual_fmac_f32 v16, 0x3e9e377a, v5
	v_mul_f32_e32 v5, 0xbf4f1bbd, v9
	s_delay_alu instid0(VALU_DEP_3) | instskip(NEXT) | instid1(VALU_DEP_3)
	v_dual_add_f32 v3, v24, v15 :: v_dual_add_f32 v0, v18, v26
	v_add_f32_e32 v1, v25, v27
	s_delay_alu instid0(VALU_DEP_3)
	v_fmac_f32_e32 v5, 0x3f167918, v8
	s_wait_loadcnt 0x0
	ds_store_2addr_b64 v37, v[0:1], v[2:3] offset1:3
	v_add_f32_e32 v0, v139, v175
	v_dual_sub_f32 v1, v157, v175 :: v_dual_sub_f32 v2, v158, v145
	v_add_f32_e32 v3, v145, v185
	s_delay_alu instid0(VALU_DEP_3) | instskip(NEXT) | instid1(VALU_DEP_2)
	v_dual_fmac_f32 v131, -0.5, v0 :: v_dual_sub_f32 v0, v147, v139
	v_dual_fmac_f32 v136, -0.5, v3 :: v_dual_sub_f32 v3, v144, v138
	s_delay_alu instid0(VALU_DEP_2) | instskip(NEXT) | instid1(VALU_DEP_3)
	v_fmamk_f32 v34, v23, 0xbf737871, v131
	v_dual_add_f32 v0, v0, v1 :: v_dual_add_f32 v1, v2, v28
	v_sub_f32_e32 v28, v156, v183
	v_add_f32_e32 v2, v29, v31
	v_dual_add_f32 v29, v138, v183 :: v_dual_fmamk_f32 v30, v13, 0x3f737871, v136
	s_delay_alu instid0(VALU_DEP_3) | instskip(SKIP_2) | instid1(VALU_DEP_4)
	v_dual_fmac_f32 v136, 0xbf737871, v13 :: v_dual_add_f32 v3, v3, v28
	v_fmamk_f32 v28, v11, 0xbf737871, v137
	v_fmac_f32_e32 v137, 0x3f737871, v11
	v_fma_f32 v29, -0.5, v29, v130
	s_delay_alu instid0(VALU_DEP_4)
	v_fmac_f32_e32 v136, 0x3f167918, v12
	v_fmac_f32_e32 v131, 0x3f737871, v23
	;; [unrolled: 1-line block ×4, first 2 shown]
	v_fmamk_f32 v33, v20, 0x3f737871, v29
	v_fmac_f32_e32 v29, 0xbf737871, v20
	v_fmac_f32_e32 v30, 0xbf167918, v12
	;; [unrolled: 1-line block ×3, first 2 shown]
	v_dual_fmac_f32 v137, 0x3e9e377a, v2 :: v_dual_fmac_f32 v136, 0x3e9e377a, v1
	s_delay_alu instid0(VALU_DEP_4) | instskip(SKIP_2) | instid1(VALU_DEP_4)
	v_fmac_f32_e32 v29, 0x3f167918, v19
	v_fmac_f32_e32 v33, 0xbf167918, v19
	;; [unrolled: 1-line block ×3, first 2 shown]
	v_mul_f32_e32 v31, 0xbe9e377a, v137
	v_mul_f32_e32 v32, 0xbf737871, v137
	v_fmac_f32_e32 v34, 0x3f167918, v22
	v_fmac_f32_e32 v30, 0x3e9e377a, v1
	v_mul_f32_e32 v35, 0xbf737871, v28
	v_mul_f32_e32 v28, 0x3e9e377a, v28
	v_fmac_f32_e32 v31, 0x3f737871, v136
	v_fmac_f32_e32 v32, 0xbe9e377a, v136
	;; [unrolled: 1-line block ×5, first 2 shown]
	v_dual_fmac_f32 v34, 0x3e9e377a, v0 :: v_dual_fmac_f32 v35, 0x3e9e377a, v30
	v_fmac_f32_e32 v28, 0x3f737871, v30
	s_delay_alu instid0(VALU_DEP_3) | instskip(NEXT) | instid1(VALU_DEP_2)
	v_dual_add_f32 v0, v29, v32 :: v_dual_add_f32 v1, v131, v31
	v_dual_add_f32 v2, v33, v35 :: v_dual_add_f32 v3, v34, v28
	ds_store_2addr_b64 v37, v[2:3], v[0:1] offset0:6 offset1:9
	v_dual_sub_f32 v0, v18, v26 :: v_dual_sub_f32 v1, v25, v27
	v_dual_add_f32 v2, v17, v4 :: v_dual_add_f32 v3, v16, v5
	ds_store_2addr_b64 v37, v[2:3], v[0:1] offset0:12 offset1:15
	v_dual_sub_f32 v0, v21, v14 :: v_dual_sub_f32 v1, v24, v15
	v_dual_sub_f32 v2, v33, v35 :: v_dual_sub_f32 v3, v34, v28
	ds_store_2addr_b64 v37, v[0:1], v[2:3] offset0:18 offset1:21
	v_dual_sub_f32 v1, v131, v31 :: v_dual_sub_f32 v0, v29, v32
	v_dual_sub_f32 v2, v17, v4 :: v_dual_sub_f32 v3, v16, v5
	ds_store_2addr_b64 v37, v[0:1], v[2:3] offset0:24 offset1:27
	global_wb scope:SCOPE_SE
	s_wait_dscnt 0x0
	s_barrier_signal -1
	s_barrier_wait -1
	global_inv scope:SCOPE_SE
	scratch_load_b64 v[4:5], off, off offset:424 th:TH_LOAD_LU ; 8-byte Folded Reload
	ds_load_2addr_b64 v[0:3], v65 offset0:88 offset1:178
	s_wait_loadcnt_dscnt 0x0
	v_mul_f32_e32 v132, v5, v1
	s_delay_alu instid0(VALU_DEP_1) | instskip(SKIP_1) | instid1(VALU_DEP_1)
	v_fmac_f32_e32 v132, v4, v0
	v_mul_f32_e32 v0, v5, v0
	v_fma_f32 v131, v4, v1, -v0
	scratch_load_b64 v[0:1], off, off offset:416 th:TH_LOAD_LU ; 8-byte Folded Reload
	s_wait_loadcnt 0x0
	v_mul_f32_e32 v128, v1, v3
	v_dual_mov_b32 v5, v1 :: v_dual_mov_b32 v4, v0
	s_delay_alu instid0(VALU_DEP_2) | instskip(NEXT) | instid1(VALU_DEP_2)
	v_fmac_f32_e32 v128, v0, v2
	v_mul_f32_e32 v0, v5, v2
	s_delay_alu instid0(VALU_DEP_1) | instskip(SKIP_4) | instid1(VALU_DEP_1)
	v_fma_f32 v129, v4, v3, -v0
	scratch_load_b64 v[4:5], off, off offset:408 th:TH_LOAD_LU ; 8-byte Folded Reload
	ds_load_2addr_b64 v[0:3], v72 offset0:36 offset1:126
	s_wait_dscnt 0x0
	v_mul_f32_e32 v130, v127, v1
	v_fmac_f32_e32 v130, v126, v0
	v_mul_f32_e32 v0, v127, v0
	s_delay_alu instid0(VALU_DEP_1) | instskip(SKIP_2) | instid1(VALU_DEP_1)
	v_fma_f32 v127, v126, v1, -v0
	s_wait_loadcnt 0x0
	v_mul_f32_e32 v135, v5, v3
	v_fmac_f32_e32 v135, v4, v2
	v_mul_f32_e32 v2, v5, v2
	s_delay_alu instid0(VALU_DEP_1) | instskip(SKIP_3) | instid1(VALU_DEP_1)
	v_fma_f32 v134, v4, v3, -v2
	ds_load_2addr_b64 v[0:3], v184 offset0:60 offset1:150
	s_wait_dscnt 0x0
	v_mul_f32_e32 v126, v125, v3
	v_fmac_f32_e32 v126, v124, v2
	v_mul_f32_e32 v2, v125, v2
	v_mul_f32_e32 v125, v117, v1
	s_delay_alu instid0(VALU_DEP_2) | instskip(NEXT) | instid1(VALU_DEP_2)
	v_fma_f32 v124, v124, v3, -v2
	v_fmac_f32_e32 v125, v116, v0
	v_mul_f32_e32 v0, v117, v0
	s_delay_alu instid0(VALU_DEP_1) | instskip(SKIP_4) | instid1(VALU_DEP_2)
	v_fma_f32 v116, v116, v1, -v0
	ds_load_2addr_b64 v[0:3], v186 offset0:112 offset1:202
	s_wait_dscnt 0x0
	v_mul_f32_e32 v133, v119, v3
	v_mul_f32_e32 v139, v115, v1
	v_fmac_f32_e32 v133, v118, v2
	s_delay_alu instid0(VALU_DEP_2) | instskip(SKIP_1) | instid1(VALU_DEP_2)
	v_dual_mul_f32 v2, v119, v2 :: v_dual_fmac_f32 v139, v114, v0
	v_mul_f32_e32 v0, v115, v0
	v_fma_f32 v117, v118, v3, -v2
	s_delay_alu instid0(VALU_DEP_2) | instskip(SKIP_4) | instid1(VALU_DEP_2)
	v_fma_f32 v138, v114, v1, -v0
	ds_load_2addr_b64 v[0:3], v191 offset0:8 offset1:98
	s_wait_dscnt 0x0
	v_mul_f32_e32 v137, v113, v3
	v_mul_f32_e32 v115, v123, v1
	v_fmac_f32_e32 v137, v112, v2
	s_delay_alu instid0(VALU_DEP_2) | instskip(SKIP_1) | instid1(VALU_DEP_2)
	v_dual_mul_f32 v2, v113, v2 :: v_dual_fmac_f32 v115, v122, v0
	v_mul_f32_e32 v0, v123, v0
	v_fma_f32 v136, v112, v3, -v2
	s_delay_alu instid0(VALU_DEP_2) | instskip(SKIP_3) | instid1(VALU_DEP_1)
	v_fma_f32 v114, v122, v1, -v0
	ds_load_2addr_b64 v[0:3], v74 offset0:160 offset1:250
	s_wait_dscnt 0x0
	v_mul_f32_e32 v113, v121, v3
	v_dual_mul_f32 v118, v105, v1 :: v_dual_fmac_f32 v113, v120, v2
	v_mul_f32_e32 v2, v121, v2
	s_delay_alu instid0(VALU_DEP_2) | instskip(SKIP_1) | instid1(VALU_DEP_3)
	v_fmac_f32_e32 v118, v104, v0
	v_mul_f32_e32 v0, v105, v0
	v_fma_f32 v112, v120, v3, -v2
	s_delay_alu instid0(VALU_DEP_2) | instskip(SKIP_4) | instid1(VALU_DEP_2)
	v_fma_f32 v104, v104, v1, -v0
	ds_load_2addr_b64 v[0:3], v73 offset0:84 offset1:174
	s_wait_dscnt 0x0
	v_mul_f32_e32 v119, v107, v3
	v_mul_f32_e32 v123, v103, v1
	v_fmac_f32_e32 v119, v106, v2
	s_delay_alu instid0(VALU_DEP_2) | instskip(SKIP_1) | instid1(VALU_DEP_2)
	v_dual_mul_f32 v2, v107, v2 :: v_dual_fmac_f32 v123, v102, v0
	v_mul_f32_e32 v0, v103, v0
	v_fma_f32 v106, v106, v3, -v2
	s_delay_alu instid0(VALU_DEP_2)
	v_fma_f32 v122, v102, v1, -v0
	ds_load_2addr_b64 v[0:3], v187 offset0:108 offset1:198
	v_sub_f32_e32 v28, v106, v117
	s_wait_dscnt 0x0
	v_dual_sub_f32 v4, v122, v138 :: v_dual_mul_f32 v121, v101, v3
	v_mul_f32_e32 v103, v111, v1
	s_delay_alu instid0(VALU_DEP_2) | instskip(NEXT) | instid1(VALU_DEP_2)
	v_fmac_f32_e32 v121, v100, v2
	v_dual_mul_f32 v2, v101, v2 :: v_dual_fmac_f32 v103, v110, v0
	v_mul_f32_e32 v0, v111, v0
	s_delay_alu instid0(VALU_DEP_3) | instskip(NEXT) | instid1(VALU_DEP_3)
	v_sub_f32_e32 v150, v121, v137
	v_fma_f32 v120, v100, v3, -v2
	s_delay_alu instid0(VALU_DEP_3)
	v_fma_f32 v102, v110, v1, -v0
	ds_load_2addr_b64 v[0:3], v38 offset0:132 offset1:222
	v_sub_f32_e32 v151, v120, v136
	s_wait_dscnt 0x0
	v_mul_f32_e32 v101, v109, v3
	v_mul_f32_e32 v107, v93, v1
	s_delay_alu instid0(VALU_DEP_2) | instskip(NEXT) | instid1(VALU_DEP_2)
	v_fmac_f32_e32 v101, v108, v2
	v_dual_mul_f32 v2, v109, v2 :: v_dual_fmac_f32 v107, v92, v0
	v_mul_f32_e32 v0, v93, v0
	s_delay_alu instid0(VALU_DEP_2) | instskip(NEXT) | instid1(VALU_DEP_2)
	v_fma_f32 v100, v108, v3, -v2
	v_fma_f32 v105, v92, v1, -v0
	ds_load_2addr_b64 v[0:3], v193 offset0:56 offset1:146
	s_wait_dscnt 0x0
	v_mul_f32_e32 v109, v95, v3
	s_delay_alu instid0(VALU_DEP_1) | instskip(SKIP_1) | instid1(VALU_DEP_2)
	v_dual_mul_f32 v142, v91, v1 :: v_dual_fmac_f32 v109, v94, v2
	v_mul_f32_e32 v2, v95, v2
	v_fmac_f32_e32 v142, v90, v0
	v_mul_f32_e32 v0, v91, v0
	s_delay_alu instid0(VALU_DEP_4) | instskip(NEXT) | instid1(VALU_DEP_4)
	v_sub_f32_e32 v24, v109, v119
	v_fma_f32 v108, v94, v3, -v2
	s_delay_alu instid0(VALU_DEP_4) | instskip(NEXT) | instid1(VALU_DEP_4)
	v_sub_f32_e32 v163, v142, v123
	v_fma_f32 v141, v90, v1, -v0
	ds_load_2addr_b64 v[0:3], v75 offset0:80 offset1:170
	v_sub_f32_e32 v19, v108, v106
	v_sub_f32_e32 v160, v141, v122
	s_wait_dscnt 0x0
	v_mul_f32_e32 v140, v89, v3
	v_mul_f32_e32 v92, v99, v1
	s_delay_alu instid0(VALU_DEP_2) | instskip(SKIP_1) | instid1(VALU_DEP_3)
	v_fmac_f32_e32 v140, v88, v2
	v_mul_f32_e32 v2, v89, v2
	v_fmac_f32_e32 v92, v98, v0
	s_delay_alu instid0(VALU_DEP_3) | instskip(NEXT) | instid1(VALU_DEP_3)
	v_dual_mul_f32 v0, v99, v0 :: v_dual_sub_f32 v153, v140, v135
	v_fma_f32 v110, v88, v3, -v2
	s_delay_alu instid0(VALU_DEP_2)
	v_fma_f32 v93, v98, v1, -v0
	ds_load_2addr_b64 v[0:3], v189 offset0:104 offset1:194
	v_sub_f32_e32 v154, v110, v134
	s_wait_dscnt 0x0
	v_mul_f32_e32 v90, v97, v3
	v_mul_f32_e32 v94, v85, v1
	s_delay_alu instid0(VALU_DEP_2) | instskip(SKIP_1) | instid1(VALU_DEP_3)
	v_fmac_f32_e32 v90, v96, v2
	v_mul_f32_e32 v2, v97, v2
	v_fmac_f32_e32 v94, v84, v0
	v_mul_f32_e32 v0, v85, v0
	s_delay_alu instid0(VALU_DEP_3) | instskip(NEXT) | instid1(VALU_DEP_2)
	v_fma_f32 v91, v96, v3, -v2
	v_fma_f32 v95, v84, v1, -v0
	ds_load_2addr_b64 v[0:3], v242 offset0:28 offset1:118
	s_wait_dscnt 0x0
	v_mul_f32_e32 v144, v83, v1
	v_mul_f32_e32 v96, v87, v3
	s_delay_alu instid0(VALU_DEP_2) | instskip(SKIP_1) | instid1(VALU_DEP_3)
	v_fmac_f32_e32 v144, v82, v0
	v_mul_f32_e32 v0, v83, v0
	v_fmac_f32_e32 v96, v86, v2
	v_mul_f32_e32 v2, v87, v2
	s_delay_alu instid0(VALU_DEP_4) | instskip(NEXT) | instid1(VALU_DEP_4)
	v_sub_f32_e32 v164, v144, v139
	v_fma_f32 v145, v82, v1, -v0
	ds_load_2addr_b64 v[82:85], v195 offset0:52 offset1:142
	v_fma_f32 v97, v86, v3, -v2
	v_dual_sub_f32 v1, v139, v123 :: v_dual_sub_f32 v22, v96, v133
	v_add_f32_e32 v3, v141, v122
	v_sub_f32_e32 v161, v145, v138
	s_delay_alu instid0(VALU_DEP_4) | instskip(SKIP_3) | instid1(VALU_DEP_2)
	v_sub_f32_e32 v17, v97, v117
	s_wait_dscnt 0x0
	v_mul_f32_e32 v99, v81, v85
	v_mul_f32_e32 v0, v81, v84
	v_fmac_f32_e32 v99, v80, v84
	s_delay_alu instid0(VALU_DEP_2)
	v_fma_f32 v111, v80, v85, -v0
	ds_load_2addr_b64 v[84:87], v250 offset1:90
	global_wb scope:SCOPE_SE
	s_wait_dscnt 0x0
	s_barrier_signal -1
	s_barrier_wait -1
	global_inv scope:SCOPE_SE
	scratch_load_b32 v12, off, off offset:432 th:TH_LOAD_LU ; 4-byte Folded Reload
	v_sub_f32_e32 v0, v144, v142
	v_add_f32_e32 v2, v111, v110
	scratch_load_b32 v35, off, off offset:472 th:TH_LOAD_LU ; 4-byte Folded Reload
	v_add_f32_e32 v98, v0, v1
	v_dual_sub_f32 v0, v145, v141 :: v_dual_sub_f32 v1, v138, v122
	s_delay_alu instid0(VALU_DEP_1) | instskip(SKIP_1) | instid1(VALU_DEP_2)
	v_dual_add_f32 v2, v2, v120 :: v_dual_add_f32 v143, v0, v1
	v_sub_f32_e32 v0, v140, v121
	v_dual_sub_f32 v1, v135, v137 :: v_dual_add_f32 v2, v2, v136
	v_fma_f32 v157, -0.5, v3, v85
	s_delay_alu instid0(VALU_DEP_2) | instskip(SKIP_3) | instid1(VALU_DEP_4)
	v_dual_add_f32 v3, v145, v138 :: v_dual_add_f32 v146, v0, v1
	v_sub_f32_e32 v0, v110, v120
	v_sub_f32_e32 v1, v134, v136
	v_dual_add_f32 v167, v2, v134 :: v_dual_add_f32 v2, v144, v139
	v_fma_f32 v7, -0.5, v3, v85
	v_fmamk_f32 v159, v164, 0x3f737871, v157
	s_delay_alu instid0(VALU_DEP_4)
	v_add_f32_e32 v149, v0, v1
	v_add_f32_e32 v0, v121, v137
	v_fma_f32 v5, -0.5, v2, v84
	v_add_f32_e32 v2, v140, v135
	v_fmamk_f32 v8, v163, 0xbf737871, v7
	v_fmac_f32_e32 v7, 0x3f737871, v163
	v_fma_f32 v147, -0.5, v0, v99
	v_add_f32_e32 v0, v120, v136
	v_fmamk_f32 v6, v160, 0x3f737871, v5
	v_fmac_f32_e32 v5, 0xbf737871, v160
	v_fmac_f32_e32 v8, 0x3f167918, v164
	v_fmamk_f32 v1, v154, 0xbf737871, v147
	v_fma_f32 v148, -0.5, v0, v111
	v_fmac_f32_e32 v6, 0xbf167918, v161
	v_fmac_f32_e32 v5, 0x3f167918, v161
	;; [unrolled: 1-line block ×4, first 2 shown]
	v_fmamk_f32 v0, v153, 0x3f737871, v148
	v_fmac_f32_e32 v159, 0x3f167918, v163
	v_fmac_f32_e32 v148, 0xbf737871, v153
	;; [unrolled: 1-line block ×10, first 2 shown]
	s_delay_alu instid0(VALU_DEP_4) | instskip(NEXT) | instid1(VALU_DEP_4)
	v_fmac_f32_e32 v148, 0x3e9e377a, v149
	v_fmac_f32_e32 v157, 0xbf167918, v163
	s_delay_alu instid0(VALU_DEP_4) | instskip(NEXT) | instid1(VALU_DEP_4)
	v_fmac_f32_e32 v147, 0x3e9e377a, v146
	v_mul_f32_e32 v152, 0xbf167918, v0
	v_mul_f32_e32 v155, 0x3f4f1bbd, v0
	v_add_f32_e32 v0, v84, v144
	v_mul_f32_e32 v13, 0xbf4f1bbd, v148
	v_fmac_f32_e32 v157, 0x3e9e377a, v143
	v_fmac_f32_e32 v152, 0x3f4f1bbd, v1
	s_delay_alu instid0(VALU_DEP_4) | instskip(SKIP_2) | instid1(VALU_DEP_3)
	v_dual_fmac_f32 v155, 0x3f167918, v1 :: v_dual_add_f32 v0, v0, v142
	v_add_f32_e32 v1, v142, v123
	v_fmac_f32_e32 v13, 0x3f167918, v147
	v_add_f32_e32 v89, v159, v155
	s_delay_alu instid0(VALU_DEP_4) | instskip(NEXT) | instid1(VALU_DEP_4)
	v_add_f32_e32 v0, v0, v123
	v_fma_f32 v156, -0.5, v1, v84
	v_add_f32_e32 v1, v99, v140
	v_fmac_f32_e32 v99, -0.5, v2
	v_sub_f32_e32 v2, v136, v134
	v_add_f32_e32 v162, v0, v139
	v_add_f32_e32 v0, v85, v145
	;; [unrolled: 1-line block ×3, first 2 shown]
	v_fmamk_f32 v3, v151, 0x3f737871, v99
	v_dual_fmac_f32 v99, 0xbf737871, v151 :: v_dual_fmamk_f32 v158, v161, 0xbf737871, v156
	s_delay_alu instid0(VALU_DEP_4) | instskip(NEXT) | instid1(VALU_DEP_4)
	v_add_f32_e32 v0, v0, v141
	v_add_f32_e32 v1, v1, v137
	s_delay_alu instid0(VALU_DEP_4) | instskip(NEXT) | instid1(VALU_DEP_4)
	v_fmac_f32_e32 v3, 0xbf167918, v154
	v_fmac_f32_e32 v99, 0x3f167918, v154
	;; [unrolled: 1-line block ×3, first 2 shown]
	v_add_f32_e32 v0, v0, v122
	v_add_f32_e32 v166, v1, v135
	v_dual_sub_f32 v1, v123, v139 :: v_dual_fmac_f32 v156, 0x3f737871, v161
	s_delay_alu instid0(VALU_DEP_4) | instskip(NEXT) | instid1(VALU_DEP_4)
	v_fmac_f32_e32 v158, 0x3e9e377a, v98
	v_dual_add_f32 v165, v0, v138 :: v_dual_sub_f32 v0, v142, v144
	s_delay_alu instid0(VALU_DEP_4) | instskip(NEXT) | instid1(VALU_DEP_4)
	v_add_f32_e32 v80, v162, v166
	v_fmac_f32_e32 v156, 0x3f167918, v160
	s_delay_alu instid0(VALU_DEP_3) | instskip(NEXT) | instid1(VALU_DEP_4)
	v_dual_add_f32 v88, v158, v152 :: v_dual_add_f32 v81, v165, v167
	v_add_f32_e32 v0, v0, v1
	s_delay_alu instid0(VALU_DEP_3) | instskip(NEXT) | instid1(VALU_DEP_2)
	v_dual_sub_f32 v1, v141, v145 :: v_dual_fmac_f32 v156, 0x3e9e377a, v98
	v_fmac_f32_e32 v6, 0x3e9e377a, v0
	v_fmac_f32_e32 v5, 0x3e9e377a, v0
	s_delay_alu instid0(VALU_DEP_3) | instskip(SKIP_2) | instid1(VALU_DEP_3)
	v_add_f32_e32 v0, v1, v4
	v_sub_f32_e32 v1, v121, v140
	v_sub_f32_e32 v4, v137, v135
	v_fmac_f32_e32 v8, 0x3e9e377a, v0
	v_fmac_f32_e32 v7, 0x3e9e377a, v0
	s_delay_alu instid0(VALU_DEP_3) | instskip(NEXT) | instid1(VALU_DEP_1)
	v_dual_add_f32 v0, v1, v4 :: v_dual_add_f32 v1, v110, v134
	v_fmac_f32_e32 v3, 0x3e9e377a, v0
	s_delay_alu instid0(VALU_DEP_2) | instskip(SKIP_1) | instid1(VALU_DEP_1)
	v_fmac_f32_e32 v111, -0.5, v1
	v_sub_f32_e32 v1, v120, v110
	v_dual_fmac_f32 v99, 0x3e9e377a, v0 :: v_dual_add_f32 v0, v1, v2
	s_delay_alu instid0(VALU_DEP_3) | instskip(SKIP_1) | instid1(VALU_DEP_2)
	v_fmamk_f32 v1, v150, 0xbf737871, v111
	v_fmac_f32_e32 v111, 0x3f737871, v150
	v_fmac_f32_e32 v1, 0x3f167918, v153
	s_delay_alu instid0(VALU_DEP_2) | instskip(NEXT) | instid1(VALU_DEP_2)
	v_fmac_f32_e32 v111, 0xbf167918, v153
	v_fmac_f32_e32 v1, 0x3e9e377a, v0
	s_delay_alu instid0(VALU_DEP_2) | instskip(NEXT) | instid1(VALU_DEP_2)
	v_fmac_f32_e32 v111, 0x3e9e377a, v0
	v_mul_f32_e32 v4, 0xbf737871, v1
	v_mul_f32_e32 v9, 0x3e9e377a, v1
	s_delay_alu instid0(VALU_DEP_3) | instskip(SKIP_1) | instid1(VALU_DEP_4)
	v_mul_f32_e32 v10, 0xbf737871, v111
	v_mul_f32_e32 v11, 0xbe9e377a, v111
	v_fmac_f32_e32 v4, 0x3e9e377a, v3
	s_delay_alu instid0(VALU_DEP_4) | instskip(NEXT) | instid1(VALU_DEP_4)
	v_fmac_f32_e32 v9, 0x3f737871, v3
	v_fmac_f32_e32 v10, 0xbe9e377a, v99
	s_delay_alu instid0(VALU_DEP_3) | instskip(NEXT) | instid1(VALU_DEP_2)
	v_dual_fmac_f32 v11, 0x3f737871, v99 :: v_dual_add_f32 v0, v6, v4
	v_dual_add_f32 v1, v8, v9 :: v_dual_add_f32 v2, v5, v10
	s_delay_alu instid0(VALU_DEP_2)
	v_add_f32_e32 v3, v7, v11
	s_wait_loadcnt 0x1
	ds_store_2addr_b64 v12, v[80:81], v[88:89] offset1:30
	ds_store_2addr_b64 v12, v[0:1], v[2:3] offset0:60 offset1:90
	v_mov_b32_e32 v14, v12
	v_mul_f32_e32 v12, 0xbf167918, v148
	v_dual_sub_f32 v0, v162, v166 :: v_dual_sub_f32 v1, v165, v167
	v_dual_add_f32 v3, v157, v13 :: v_dual_mov_b32 v80, v38
	s_delay_alu instid0(VALU_DEP_3) | instskip(NEXT) | instid1(VALU_DEP_1)
	v_fmac_f32_e32 v12, 0xbf4f1bbd, v147
	v_add_f32_e32 v2, v156, v12
	ds_store_2addr_b64 v14, v[2:3], v[0:1] offset0:120 offset1:150
	v_sub_f32_e32 v2, v6, v4
	scratch_load_b32 v4, off, off offset:280 th:TH_LOAD_LU ; 4-byte Folded Reload
	v_dual_sub_f32 v0, v158, v152 :: v_dual_sub_f32 v1, v159, v155
	v_sub_f32_e32 v3, v8, v9
	ds_store_2addr_b64 v14, v[0:1], v[2:3] offset0:180 offset1:210
	v_dual_sub_f32 v0, v5, v10 :: v_dual_sub_f32 v1, v7, v11
	v_dual_sub_f32 v2, v156, v12 :: v_dual_sub_f32 v3, v157, v13
	v_sub_f32_e32 v10, v107, v132
	v_dual_sub_f32 v12, v105, v131 :: v_dual_sub_f32 v13, v104, v116
	s_wait_loadcnt 0x0
	ds_store_2addr_b64 v4, v[0:1], v[2:3] offset0:112 offset1:142
	v_add_f32_e32 v3, v108, v106
	v_dual_sub_f32 v0, v96, v109 :: v_dual_sub_f32 v1, v133, v119
	v_add_f32_e32 v2, v95, v105
	s_delay_alu instid0(VALU_DEP_3) | instskip(NEXT) | instid1(VALU_DEP_3)
	v_fma_f32 v21, -0.5, v3, v87
	v_add_f32_e32 v4, v0, v1
	v_sub_f32_e32 v0, v97, v108
	v_sub_f32_e32 v1, v117, v106
	s_delay_alu instid0(VALU_DEP_4) | instskip(SKIP_1) | instid1(VALU_DEP_3)
	v_fmamk_f32 v23, v22, 0x3f737871, v21
	v_dual_add_f32 v2, v2, v104 :: v_dual_fmac_f32 v21, 0xbf737871, v22
	v_add_f32_e32 v5, v0, v1
	s_delay_alu instid0(VALU_DEP_3) | instskip(NEXT) | instid1(VALU_DEP_3)
	v_fmac_f32_e32 v23, 0x3f167918, v24
	v_dual_sub_f32 v1, v132, v125 :: v_dual_add_f32 v2, v2, v116
	s_delay_alu instid0(VALU_DEP_4) | instskip(NEXT) | instid1(VALU_DEP_3)
	v_fmac_f32_e32 v21, 0xbf167918, v24
	v_dual_fmac_f32 v23, 0x3e9e377a, v5 :: v_dual_sub_f32 v0, v107, v118
	v_sub_f32_e32 v11, v118, v125
	s_delay_alu instid0(VALU_DEP_4) | instskip(NEXT) | instid1(VALU_DEP_4)
	v_add_f32_e32 v27, v2, v131
	v_fmac_f32_e32 v21, 0x3e9e377a, v5
	s_delay_alu instid0(VALU_DEP_4) | instskip(SKIP_2) | instid1(VALU_DEP_1)
	v_add_f32_e32 v6, v0, v1
	v_sub_f32_e32 v0, v105, v104
	v_sub_f32_e32 v1, v131, v116
	v_add_f32_e32 v7, v0, v1
	v_add_f32_e32 v0, v118, v125
	s_delay_alu instid0(VALU_DEP_1) | instskip(SKIP_1) | instid1(VALU_DEP_2)
	v_fma_f32 v8, -0.5, v0, v94
	v_add_f32_e32 v0, v104, v116
	v_fmamk_f32 v1, v12, 0xbf737871, v8
	s_delay_alu instid0(VALU_DEP_2) | instskip(SKIP_1) | instid1(VALU_DEP_3)
	v_fma_f32 v9, -0.5, v0, v95
	v_fmac_f32_e32 v8, 0x3f737871, v12
	v_fmac_f32_e32 v1, 0xbf167918, v13
	s_delay_alu instid0(VALU_DEP_3) | instskip(SKIP_1) | instid1(VALU_DEP_4)
	v_fmamk_f32 v0, v10, 0x3f737871, v9
	v_fmac_f32_e32 v9, 0xbf737871, v10
	v_fmac_f32_e32 v8, 0x3f167918, v13
	s_delay_alu instid0(VALU_DEP_4) | instskip(NEXT) | instid1(VALU_DEP_4)
	v_fmac_f32_e32 v1, 0x3e9e377a, v6
	v_fmac_f32_e32 v0, 0x3f167918, v11
	s_delay_alu instid0(VALU_DEP_4) | instskip(NEXT) | instid1(VALU_DEP_4)
	v_fmac_f32_e32 v9, 0xbf167918, v11
	v_fmac_f32_e32 v8, 0x3e9e377a, v6
	s_delay_alu instid0(VALU_DEP_3) | instskip(NEXT) | instid1(VALU_DEP_3)
	v_fmac_f32_e32 v0, 0x3e9e377a, v7
	v_fmac_f32_e32 v9, 0x3e9e377a, v7
	s_delay_alu instid0(VALU_DEP_2) | instskip(SKIP_1) | instid1(VALU_DEP_3)
	v_mul_f32_e32 v14, 0xbf167918, v0
	v_mul_f32_e32 v15, 0x3f4f1bbd, v0
	v_dual_add_f32 v0, v86, v96 :: v_dual_mul_f32 v5, 0xbf4f1bbd, v9
	s_delay_alu instid0(VALU_DEP_3) | instskip(NEXT) | instid1(VALU_DEP_3)
	v_fmac_f32_e32 v14, 0x3f4f1bbd, v1
	v_fmac_f32_e32 v15, 0x3f167918, v1
	s_delay_alu instid0(VALU_DEP_3) | instskip(NEXT) | instid1(VALU_DEP_4)
	v_dual_add_f32 v0, v0, v109 :: v_dual_add_f32 v1, v109, v119
	v_fmac_f32_e32 v5, 0x3f167918, v8
	s_delay_alu instid0(VALU_DEP_3) | instskip(NEXT) | instid1(VALU_DEP_3)
	v_add_f32_e32 v3, v23, v15
	v_add_f32_e32 v0, v0, v119
	s_delay_alu instid0(VALU_DEP_4) | instskip(NEXT) | instid1(VALU_DEP_2)
	v_fma_f32 v16, -0.5, v1, v86
	v_dual_add_f32 v1, v94, v107 :: v_dual_add_f32 v20, v0, v133
	v_add_f32_e32 v0, v87, v97
	s_delay_alu instid0(VALU_DEP_3) | instskip(NEXT) | instid1(VALU_DEP_3)
	v_fmamk_f32 v18, v17, 0xbf737871, v16
	v_dual_add_f32 v1, v1, v118 :: v_dual_fmac_f32 v16, 0x3f737871, v17
	s_delay_alu instid0(VALU_DEP_3) | instskip(NEXT) | instid1(VALU_DEP_2)
	v_add_f32_e32 v0, v0, v108
	v_dual_fmac_f32 v18, 0xbf167918, v19 :: v_dual_add_f32 v1, v1, v125
	s_delay_alu instid0(VALU_DEP_3) | instskip(NEXT) | instid1(VALU_DEP_3)
	v_fmac_f32_e32 v16, 0x3f167918, v19
	v_add_f32_e32 v0, v0, v106
	s_delay_alu instid0(VALU_DEP_3) | instskip(NEXT) | instid1(VALU_DEP_4)
	v_fmac_f32_e32 v18, 0x3e9e377a, v4
	v_add_f32_e32 v26, v1, v132
	s_delay_alu instid0(VALU_DEP_4) | instskip(SKIP_1) | instid1(VALU_DEP_4)
	v_fmac_f32_e32 v16, 0x3e9e377a, v4
	v_mul_f32_e32 v4, 0xbf167918, v9
	v_dual_add_f32 v25, v0, v117 :: v_dual_add_f32 v2, v18, v14
	s_delay_alu instid0(VALU_DEP_4) | instskip(NEXT) | instid1(VALU_DEP_2)
	v_add_f32_e32 v0, v20, v26
	v_dual_fmac_f32 v4, 0xbf4f1bbd, v8 :: v_dual_add_f32 v1, v25, v27
	ds_store_2addr_b64 v35, v[0:1], v[2:3] offset1:30
	v_add_f32_e32 v2, v96, v133
	v_dual_sub_f32 v0, v109, v96 :: v_dual_sub_f32 v1, v119, v133
	v_add_f32_e32 v3, v97, v117
	s_delay_alu instid0(VALU_DEP_3) | instskip(SKIP_1) | instid1(VALU_DEP_4)
	v_fma_f32 v29, -0.5, v2, v86
	v_add_f32_e32 v2, v107, v132
	v_add_f32_e32 v0, v0, v1
	v_sub_f32_e32 v1, v108, v97
	v_fmac_f32_e32 v87, -0.5, v3
	v_fmamk_f32 v30, v19, 0x3f737871, v29
	v_fmac_f32_e32 v29, 0xbf737871, v19
	v_dual_sub_f32 v3, v125, v132 :: v_dual_fmac_f32 v94, -0.5, v2
	v_sub_f32_e32 v2, v116, v131
	s_delay_alu instid0(VALU_DEP_4) | instskip(NEXT) | instid1(VALU_DEP_4)
	v_fmac_f32_e32 v30, 0xbf167918, v17
	v_fmac_f32_e32 v29, 0x3f167918, v17
	v_sub_f32_e32 v17, v93, v127
	s_delay_alu instid0(VALU_DEP_3) | instskip(NEXT) | instid1(VALU_DEP_3)
	v_dual_sub_f32 v19, v102, v114 :: v_dual_fmac_f32 v30, 0x3e9e377a, v0
	v_fmac_f32_e32 v29, 0x3e9e377a, v0
	v_add_f32_e32 v0, v1, v28
	v_fmamk_f32 v28, v24, 0xbf737871, v87
	v_fmac_f32_e32 v87, 0x3f737871, v24
	v_sub_f32_e32 v1, v118, v107
	v_sub_f32_e32 v24, v103, v115
	s_delay_alu instid0(VALU_DEP_4) | instskip(NEXT) | instid1(VALU_DEP_4)
	v_fmac_f32_e32 v28, 0x3f167918, v22
	v_fmac_f32_e32 v87, 0xbf167918, v22
	s_delay_alu instid0(VALU_DEP_2) | instskip(NEXT) | instid1(VALU_DEP_2)
	v_fmac_f32_e32 v28, 0x3e9e377a, v0
	v_dual_fmac_f32 v87, 0x3e9e377a, v0 :: v_dual_add_f32 v0, v1, v3
	v_add_f32_e32 v1, v105, v131
	v_fmamk_f32 v3, v13, 0x3f737871, v94
	v_dual_fmac_f32 v94, 0xbf737871, v13 :: v_dual_sub_f32 v13, v112, v124
	s_delay_alu instid0(VALU_DEP_3) | instskip(SKIP_1) | instid1(VALU_DEP_4)
	v_fmac_f32_e32 v95, -0.5, v1
	v_sub_f32_e32 v1, v104, v105
	v_fmac_f32_e32 v3, 0xbf167918, v12
	s_delay_alu instid0(VALU_DEP_4) | instskip(SKIP_1) | instid1(VALU_DEP_3)
	v_fmac_f32_e32 v94, 0x3f167918, v12
	v_sub_f32_e32 v12, v100, v129
	v_dual_sub_f32 v22, v92, v130 :: v_dual_fmac_f32 v3, 0x3e9e377a, v0
	s_delay_alu instid0(VALU_DEP_3) | instskip(SKIP_3) | instid1(VALU_DEP_3)
	v_fmac_f32_e32 v94, 0x3e9e377a, v0
	v_dual_add_f32 v0, v1, v2 :: v_dual_fmamk_f32 v1, v11, 0xbf737871, v95
	v_fmac_f32_e32 v95, 0x3f737871, v11
	v_sub_f32_e32 v11, v113, v126
	v_fmac_f32_e32 v1, 0x3f167918, v10
	s_delay_alu instid0(VALU_DEP_3) | instskip(NEXT) | instid1(VALU_DEP_2)
	v_dual_fmac_f32 v95, 0xbf167918, v10 :: v_dual_sub_f32 v10, v101, v128
	v_fmac_f32_e32 v1, 0x3e9e377a, v0
	s_delay_alu instid0(VALU_DEP_2) | instskip(NEXT) | instid1(VALU_DEP_2)
	v_fmac_f32_e32 v95, 0x3e9e377a, v0
	v_mul_f32_e32 v31, 0xbf737871, v1
	v_mul_f32_e32 v32, 0x3e9e377a, v1
	s_delay_alu instid0(VALU_DEP_3) | instskip(SKIP_1) | instid1(VALU_DEP_4)
	v_mul_f32_e32 v33, 0xbf737871, v95
	v_mul_f32_e32 v34, 0xbe9e377a, v95
	v_fmac_f32_e32 v31, 0x3e9e377a, v3
	s_delay_alu instid0(VALU_DEP_4) | instskip(NEXT) | instid1(VALU_DEP_4)
	v_fmac_f32_e32 v32, 0x3f737871, v3
	v_fmac_f32_e32 v33, 0xbe9e377a, v94
	s_delay_alu instid0(VALU_DEP_4) | instskip(NEXT) | instid1(VALU_DEP_3)
	v_fmac_f32_e32 v34, 0x3f737871, v94
	v_dual_add_f32 v0, v30, v31 :: v_dual_add_f32 v1, v28, v32
	s_delay_alu instid0(VALU_DEP_2)
	v_dual_add_f32 v2, v29, v33 :: v_dual_add_f32 v3, v87, v34
	ds_store_2addr_b64 v35, v[0:1], v[2:3] offset0:60 offset1:90
	v_dual_sub_f32 v0, v20, v26 :: v_dual_sub_f32 v1, v25, v27
	v_dual_add_f32 v2, v16, v4 :: v_dual_add_f32 v3, v21, v5
	ds_store_2addr_b64 v35, v[2:3], v[0:1] offset0:120 offset1:150
	v_dual_sub_f32 v0, v18, v14 :: v_dual_sub_f32 v1, v23, v15
	v_dual_sub_f32 v2, v30, v31 :: v_dual_sub_f32 v3, v28, v32
	v_sub_f32_e32 v28, v114, v127
	ds_store_2addr_b64 v35, v[0:1], v[2:3] offset0:180 offset1:210
	v_sub_f32_e32 v2, v16, v4
	s_clause 0x1
	scratch_load_b32 v4, off, off offset:272 th:TH_LOAD_LU
	scratch_load_b32 v35, off, off offset:480 th:TH_LOAD_LU
	v_dual_sub_f32 v1, v87, v34 :: v_dual_sub_f32 v0, v29, v33
	v_sub_f32_e32 v3, v21, v5
	s_wait_loadcnt 0x1
	ds_store_2addr_b64 v4, v[0:1], v[2:3] offset0:112 offset1:142
	v_sub_f32_e32 v0, v92, v103
	v_sub_f32_e32 v1, v130, v115
	v_dual_add_f32 v3, v102, v114 :: v_dual_add_f32 v2, v91, v100
	s_delay_alu instid0(VALU_DEP_2) | instskip(SKIP_2) | instid1(VALU_DEP_4)
	v_add_f32_e32 v4, v0, v1
	v_sub_f32_e32 v0, v93, v102
	v_sub_f32_e32 v1, v127, v114
	v_fma_f32 v21, -0.5, v3, v83
	s_delay_alu instid0(VALU_DEP_2) | instskip(SKIP_1) | instid1(VALU_DEP_3)
	v_dual_add_f32 v2, v2, v112 :: v_dual_add_f32 v5, v0, v1
	v_dual_sub_f32 v0, v101, v113 :: v_dual_sub_f32 v1, v128, v126
	v_fmamk_f32 v23, v22, 0x3f737871, v21
	s_delay_alu instid0(VALU_DEP_3) | instskip(NEXT) | instid1(VALU_DEP_3)
	v_dual_add_f32 v2, v2, v124 :: v_dual_fmac_f32 v21, 0xbf737871, v22
	v_add_f32_e32 v6, v0, v1
	v_sub_f32_e32 v0, v100, v112
	v_sub_f32_e32 v1, v129, v124
	v_fmac_f32_e32 v23, 0x3f167918, v24
	v_add_f32_e32 v27, v2, v129
	v_fmac_f32_e32 v21, 0xbf167918, v24
	s_delay_alu instid0(VALU_DEP_4) | instskip(NEXT) | instid1(VALU_DEP_4)
	v_dual_add_f32 v7, v0, v1 :: v_dual_add_f32 v0, v113, v126
	v_fmac_f32_e32 v23, 0x3e9e377a, v5
	s_delay_alu instid0(VALU_DEP_3) | instskip(NEXT) | instid1(VALU_DEP_3)
	v_fmac_f32_e32 v21, 0x3e9e377a, v5
	v_fma_f32 v8, -0.5, v0, v90
	v_add_f32_e32 v0, v112, v124
	s_delay_alu instid0(VALU_DEP_2) | instskip(NEXT) | instid1(VALU_DEP_2)
	v_fmamk_f32 v1, v12, 0xbf737871, v8
	v_fma_f32 v9, -0.5, v0, v91
	v_fmac_f32_e32 v8, 0x3f737871, v12
	s_delay_alu instid0(VALU_DEP_3) | instskip(NEXT) | instid1(VALU_DEP_3)
	v_fmac_f32_e32 v1, 0xbf167918, v13
	v_fmamk_f32 v0, v10, 0x3f737871, v9
	v_fmac_f32_e32 v9, 0xbf737871, v10
	s_delay_alu instid0(VALU_DEP_4) | instskip(NEXT) | instid1(VALU_DEP_4)
	v_fmac_f32_e32 v8, 0x3f167918, v13
	v_fmac_f32_e32 v1, 0x3e9e377a, v6
	s_delay_alu instid0(VALU_DEP_4) | instskip(NEXT) | instid1(VALU_DEP_4)
	v_fmac_f32_e32 v0, 0x3f167918, v11
	v_fmac_f32_e32 v9, 0xbf167918, v11
	s_delay_alu instid0(VALU_DEP_4) | instskip(NEXT) | instid1(VALU_DEP_3)
	v_fmac_f32_e32 v8, 0x3e9e377a, v6
	v_fmac_f32_e32 v0, 0x3e9e377a, v7
	s_delay_alu instid0(VALU_DEP_3) | instskip(NEXT) | instid1(VALU_DEP_2)
	v_fmac_f32_e32 v9, 0x3e9e377a, v7
	v_mul_f32_e32 v14, 0xbf167918, v0
	v_mul_f32_e32 v15, 0x3f4f1bbd, v0
	s_delay_alu instid0(VALU_DEP_3) | instskip(NEXT) | instid1(VALU_DEP_3)
	v_dual_add_f32 v0, v82, v92 :: v_dual_mul_f32 v5, 0xbf4f1bbd, v9
	v_fmac_f32_e32 v14, 0x3f4f1bbd, v1
	s_delay_alu instid0(VALU_DEP_2) | instskip(SKIP_1) | instid1(VALU_DEP_4)
	v_dual_fmac_f32 v15, 0x3f167918, v1 :: v_dual_add_f32 v0, v0, v103
	v_add_f32_e32 v1, v103, v115
	v_fmac_f32_e32 v5, 0x3f167918, v8
	s_delay_alu instid0(VALU_DEP_3) | instskip(NEXT) | instid1(VALU_DEP_4)
	v_add_f32_e32 v3, v23, v15
	v_add_f32_e32 v0, v0, v115
	s_delay_alu instid0(VALU_DEP_4) | instskip(NEXT) | instid1(VALU_DEP_2)
	v_fma_f32 v16, -0.5, v1, v82
	v_dual_add_f32 v1, v90, v101 :: v_dual_add_f32 v20, v0, v130
	v_add_f32_e32 v0, v83, v93
	s_delay_alu instid0(VALU_DEP_3) | instskip(NEXT) | instid1(VALU_DEP_3)
	v_fmamk_f32 v18, v17, 0xbf737871, v16
	v_add_f32_e32 v1, v1, v113
	v_fmac_f32_e32 v16, 0x3f737871, v17
	s_delay_alu instid0(VALU_DEP_4) | instskip(NEXT) | instid1(VALU_DEP_3)
	v_add_f32_e32 v0, v0, v102
	v_dual_fmac_f32 v18, 0xbf167918, v19 :: v_dual_add_f32 v1, v1, v126
	s_delay_alu instid0(VALU_DEP_3) | instskip(NEXT) | instid1(VALU_DEP_3)
	v_fmac_f32_e32 v16, 0x3f167918, v19
	v_add_f32_e32 v0, v0, v114
	s_delay_alu instid0(VALU_DEP_3) | instskip(NEXT) | instid1(VALU_DEP_4)
	v_fmac_f32_e32 v18, 0x3e9e377a, v4
	v_add_f32_e32 v26, v1, v128
	s_delay_alu instid0(VALU_DEP_4) | instskip(NEXT) | instid1(VALU_DEP_4)
	v_fmac_f32_e32 v16, 0x3e9e377a, v4
	v_dual_mul_f32 v4, 0xbf167918, v9 :: v_dual_add_f32 v25, v0, v127
	s_delay_alu instid0(VALU_DEP_4) | instskip(NEXT) | instid1(VALU_DEP_4)
	v_add_f32_e32 v2, v18, v14
	v_add_f32_e32 v0, v20, v26
	s_delay_alu instid0(VALU_DEP_3)
	v_dual_fmac_f32 v4, 0xbf4f1bbd, v8 :: v_dual_add_f32 v1, v25, v27
	s_wait_loadcnt 0x0
	ds_store_2addr_b64 v35, v[0:1], v[2:3] offset1:30
	v_add_f32_e32 v2, v92, v130
	v_sub_f32_e32 v0, v103, v92
	v_sub_f32_e32 v1, v115, v130
	v_add_f32_e32 v3, v93, v127
	s_delay_alu instid0(VALU_DEP_4) | instskip(SKIP_1) | instid1(VALU_DEP_4)
	v_fma_f32 v29, -0.5, v2, v82
	v_add_f32_e32 v2, v101, v128
	v_add_f32_e32 v0, v0, v1
	v_sub_f32_e32 v1, v102, v93
	v_fmac_f32_e32 v83, -0.5, v3
	v_fmamk_f32 v30, v19, 0x3f737871, v29
	v_fmac_f32_e32 v29, 0xbf737871, v19
	v_dual_sub_f32 v3, v126, v128 :: v_dual_fmac_f32 v90, -0.5, v2
	v_sub_f32_e32 v2, v124, v129
	s_delay_alu instid0(VALU_DEP_4) | instskip(NEXT) | instid1(VALU_DEP_4)
	v_fmac_f32_e32 v30, 0xbf167918, v17
	v_fmac_f32_e32 v29, 0x3f167918, v17
	s_delay_alu instid0(VALU_DEP_2) | instskip(NEXT) | instid1(VALU_DEP_2)
	v_fmac_f32_e32 v30, 0x3e9e377a, v0
	v_fmac_f32_e32 v29, 0x3e9e377a, v0
	v_add_f32_e32 v0, v1, v28
	v_fmamk_f32 v28, v24, 0xbf737871, v83
	v_fmac_f32_e32 v83, 0x3f737871, v24
	s_delay_alu instid0(VALU_DEP_2) | instskip(NEXT) | instid1(VALU_DEP_2)
	v_dual_sub_f32 v1, v113, v101 :: v_dual_fmac_f32 v28, 0x3f167918, v22
	v_fmac_f32_e32 v83, 0xbf167918, v22
	s_delay_alu instid0(VALU_DEP_2) | instskip(NEXT) | instid1(VALU_DEP_2)
	v_fmac_f32_e32 v28, 0x3e9e377a, v0
	v_dual_fmac_f32 v83, 0x3e9e377a, v0 :: v_dual_add_f32 v0, v1, v3
	v_add_f32_e32 v1, v100, v129
	v_fmamk_f32 v3, v13, 0x3f737871, v90
	v_fmac_f32_e32 v90, 0xbf737871, v13
	s_delay_alu instid0(VALU_DEP_3) | instskip(SKIP_1) | instid1(VALU_DEP_4)
	v_fmac_f32_e32 v91, -0.5, v1
	v_sub_f32_e32 v1, v112, v100
	v_fmac_f32_e32 v3, 0xbf167918, v12
	s_delay_alu instid0(VALU_DEP_4) | instskip(NEXT) | instid1(VALU_DEP_2)
	v_fmac_f32_e32 v90, 0x3f167918, v12
	v_fmac_f32_e32 v3, 0x3e9e377a, v0
	s_delay_alu instid0(VALU_DEP_2) | instskip(SKIP_2) | instid1(VALU_DEP_2)
	v_fmac_f32_e32 v90, 0x3e9e377a, v0
	v_dual_add_f32 v0, v1, v2 :: v_dual_fmamk_f32 v1, v11, 0xbf737871, v91
	v_fmac_f32_e32 v91, 0x3f737871, v11
	v_fmac_f32_e32 v1, 0x3f167918, v10
	s_delay_alu instid0(VALU_DEP_2) | instskip(NEXT) | instid1(VALU_DEP_2)
	v_fmac_f32_e32 v91, 0xbf167918, v10
	v_fmac_f32_e32 v1, 0x3e9e377a, v0
	s_delay_alu instid0(VALU_DEP_2) | instskip(NEXT) | instid1(VALU_DEP_2)
	v_fmac_f32_e32 v91, 0x3e9e377a, v0
	v_mul_f32_e32 v31, 0xbf737871, v1
	v_mul_f32_e32 v32, 0x3e9e377a, v1
	s_delay_alu instid0(VALU_DEP_3) | instskip(SKIP_1) | instid1(VALU_DEP_4)
	v_mul_f32_e32 v33, 0xbf737871, v91
	v_mul_f32_e32 v34, 0xbe9e377a, v91
	v_fmac_f32_e32 v31, 0x3e9e377a, v3
	s_delay_alu instid0(VALU_DEP_4) | instskip(NEXT) | instid1(VALU_DEP_4)
	v_fmac_f32_e32 v32, 0x3f737871, v3
	v_fmac_f32_e32 v33, 0xbe9e377a, v90
	s_delay_alu instid0(VALU_DEP_4) | instskip(NEXT) | instid1(VALU_DEP_3)
	v_fmac_f32_e32 v34, 0x3f737871, v90
	v_dual_add_f32 v0, v30, v31 :: v_dual_add_f32 v1, v28, v32
	s_delay_alu instid0(VALU_DEP_2)
	v_dual_add_f32 v2, v29, v33 :: v_dual_add_f32 v3, v83, v34
	ds_store_2addr_b64 v35, v[0:1], v[2:3] offset0:60 offset1:90
	v_dual_sub_f32 v0, v20, v26 :: v_dual_sub_f32 v1, v25, v27
	v_dual_add_f32 v2, v16, v4 :: v_dual_add_f32 v3, v21, v5
	ds_store_2addr_b64 v35, v[2:3], v[0:1] offset0:120 offset1:150
	v_dual_sub_f32 v0, v18, v14 :: v_dual_sub_f32 v1, v23, v15
	v_dual_sub_f32 v2, v30, v31 :: v_dual_sub_f32 v3, v28, v32
	ds_store_2addr_b64 v35, v[0:1], v[2:3] offset0:180 offset1:210
	v_sub_f32_e32 v2, v16, v4
	scratch_load_b32 v4, off, off offset:268 th:TH_LOAD_LU ; 4-byte Folded Reload
	v_dual_sub_f32 v1, v83, v34 :: v_dual_sub_f32 v0, v29, v33
	v_sub_f32_e32 v3, v21, v5
	s_wait_loadcnt 0x0
	ds_store_2addr_b64 v4, v[0:1], v[2:3] offset0:112 offset1:142
	global_wb scope:SCOPE_SE
	s_wait_dscnt 0x0
	s_barrier_signal -1
	s_barrier_wait -1
	global_inv scope:SCOPE_SE
	scratch_load_b128 v[6:9], off, off offset:344 th:TH_LOAD_LU ; 16-byte Folded Reload
	ds_load_2addr_b64 v[0:3], v38 offset0:132 offset1:222
	scratch_load_b128 v[22:25], off, off offset:436 th:TH_LOAD_LU ; 16-byte Folded Reload
	s_wait_loadcnt_dscnt 0x100
	v_mul_f32_e32 v19, v7, v1
	s_delay_alu instid0(VALU_DEP_1) | instskip(SKIP_1) | instid1(VALU_DEP_1)
	v_fmac_f32_e32 v19, v6, v0
	v_mul_f32_e32 v0, v7, v0
	v_fma_f32 v14, v6, v1, -v0
	ds_load_2addr_b64 v[4:7], v191 offset0:8 offset1:98
	s_wait_dscnt 0x0
	v_mul_f32_e32 v21, v9, v5
	v_mul_f32_e32 v0, v9, v4
	s_delay_alu instid0(VALU_DEP_2) | instskip(NEXT) | instid1(VALU_DEP_2)
	v_fmac_f32_e32 v21, v8, v4
	v_fma_f32 v15, v8, v5, -v0
	scratch_load_b128 v[8:11], off, off offset:328 th:TH_LOAD_LU ; 16-byte Folded Reload
	s_wait_loadcnt 0x0
	v_mul_f32_e32 v0, v9, v2
	v_mul_f32_e32 v39, v9, v3
	;; [unrolled: 1-line block ×3, first 2 shown]
	s_delay_alu instid0(VALU_DEP_3) | instskip(SKIP_1) | instid1(VALU_DEP_4)
	v_fma_f32 v40, v8, v3, -v0
	v_mul_f32_e32 v0, v11, v6
	v_fmac_f32_e32 v39, v8, v2
	s_delay_alu instid0(VALU_DEP_4) | instskip(NEXT) | instid1(VALU_DEP_3)
	v_fmac_f32_e32 v41, v10, v6
	v_fma_f32 v42, v10, v7, -v0
	scratch_load_b128 v[8:11], off, off offset:376 th:TH_LOAD_LU ; 16-byte Folded Reload
	ds_load_2addr_b64 v[0:3], v193 offset0:56 offset1:146
	ds_load_2addr_b64 v[4:7], v184 offset0:60 offset1:150
	s_wait_dscnt 0x1
	v_mul_f32_e32 v43, v223, v1
	v_mul_f32_e32 v47, v231, v3
	s_wait_dscnt 0x0
	v_mul_f32_e32 v45, v225, v5
	v_mul_f32_e32 v49, v233, v7
	v_fmac_f32_e32 v43, v222, v0
	v_dual_mul_f32 v0, v223, v0 :: v_dual_fmac_f32 v47, v230, v2
	s_delay_alu instid0(VALU_DEP_4) | instskip(NEXT) | instid1(VALU_DEP_4)
	v_fmac_f32_e32 v45, v224, v4
	v_fmac_f32_e32 v49, v232, v6
	s_delay_alu instid0(VALU_DEP_3) | instskip(SKIP_1) | instid1(VALU_DEP_1)
	v_fma_f32 v44, v222, v1, -v0
	v_mul_f32_e32 v0, v225, v4
	v_fma_f32 v46, v224, v5, -v0
	v_mul_f32_e32 v0, v231, v2
	s_delay_alu instid0(VALU_DEP_1) | instskip(SKIP_1) | instid1(VALU_DEP_1)
	v_fma_f32 v48, v230, v3, -v0
	v_mul_f32_e32 v0, v233, v6
	v_fma_f32 v50, v232, v7, -v0
	ds_load_2addr_b64 v[0:3], v187 offset0:108 offset1:198
	ds_load_2addr_b64 v[4:7], v186 offset0:112 offset1:202
	s_wait_loadcnt_dscnt 0x1
	v_mul_f32_e32 v20, v9, v1
	s_delay_alu instid0(VALU_DEP_1) | instskip(SKIP_2) | instid1(VALU_DEP_1)
	v_fmac_f32_e32 v20, v8, v0
	s_wait_dscnt 0x0
	v_dual_mul_f32 v0, v9, v0 :: v_dual_mul_f32 v9, v11, v5
	v_fma_f32 v8, v8, v1, -v0
	v_mul_f32_e32 v0, v11, v4
	s_delay_alu instid0(VALU_DEP_3) | instskip(NEXT) | instid1(VALU_DEP_2)
	v_fmac_f32_e32 v9, v10, v4
	v_fma_f32 v51, v10, v5, -v0
	scratch_load_b128 v[10:13], off, off offset:360 th:TH_LOAD_LU ; 16-byte Folded Reload
	s_wait_loadcnt 0x0
	v_mul_f32_e32 v0, v11, v2
	v_mul_f32_e32 v52, v11, v3
	v_mul_f32_e32 v54, v13, v7
	s_delay_alu instid0(VALU_DEP_3) | instskip(SKIP_1) | instid1(VALU_DEP_4)
	v_fma_f32 v53, v10, v3, -v0
	v_mul_f32_e32 v0, v13, v6
	v_fmac_f32_e32 v52, v10, v2
	s_delay_alu instid0(VALU_DEP_4) | instskip(NEXT) | instid1(VALU_DEP_3)
	v_fmac_f32_e32 v54, v12, v6
	v_fma_f32 v55, v12, v7, -v0
	ds_load_2addr_b64 v[0:3], v74 offset0:160 offset1:250
	ds_load_2addr_b64 v[4:7], v72 offset0:36 offset1:126
	;; [unrolled: 1-line block ×3, first 2 shown]
	s_wait_dscnt 0x2
	v_mul_f32_e32 v56, v235, v1
	s_wait_dscnt 0x1
	v_mul_f32_e32 v58, v237, v5
	s_delay_alu instid0(VALU_DEP_2) | instskip(SKIP_1) | instid1(VALU_DEP_3)
	v_fmac_f32_e32 v56, v234, v0
	v_mul_f32_e32 v0, v235, v0
	v_fmac_f32_e32 v58, v236, v4
	s_delay_alu instid0(VALU_DEP_2) | instskip(SKIP_1) | instid1(VALU_DEP_1)
	v_fma_f32 v57, v234, v1, -v0
	v_dual_mul_f32 v0, v237, v4 :: v_dual_mul_f32 v1, v239, v2
	v_fma_f32 v59, v236, v5, -v0
	v_mul_f32_e32 v0, v239, v3
	s_delay_alu instid0(VALU_DEP_3) | instskip(SKIP_2) | instid1(VALU_DEP_4)
	v_fma_f32 v60, v238, v3, -v1
	v_mul_f32_e32 v3, v241, v7
	v_mul_f32_e32 v1, v241, v6
	v_fmac_f32_e32 v0, v238, v2
	s_delay_alu instid0(VALU_DEP_3) | instskip(NEXT) | instid1(VALU_DEP_3)
	v_fmac_f32_e32 v3, v240, v6
	v_fma_f32 v16, v240, v7, -v1
	ds_load_2addr_b64 v[4:7], v73 offset0:84 offset1:174
	s_wait_dscnt 0x0
	v_mul_f32_e32 v1, v23, v5
	v_mul_f32_e32 v2, v23, v4
	s_delay_alu instid0(VALU_DEP_2) | instskip(NEXT) | instid1(VALU_DEP_2)
	v_fmac_f32_e32 v1, v22, v4
	v_fma_f32 v5, v22, v5, -v2
	v_mul_f32_e32 v4, v25, v11
	v_mul_f32_e32 v2, v25, v10
	s_delay_alu instid0(VALU_DEP_2) | instskip(NEXT) | instid1(VALU_DEP_2)
	v_fmac_f32_e32 v4, v24, v10
	v_fma_f32 v17, v24, v11, -v2
	scratch_load_b128 v[22:25], off, off offset:392 th:TH_LOAD_LU ; 16-byte Folded Reload
	s_wait_loadcnt 0x0
	v_mul_f32_e32 v2, v23, v7
	v_mul_f32_e32 v10, v25, v12
	s_delay_alu instid0(VALU_DEP_2) | instskip(SKIP_1) | instid1(VALU_DEP_3)
	v_fmac_f32_e32 v2, v22, v6
	v_mul_f32_e32 v6, v23, v6
	v_fma_f32 v18, v24, v13, -v10
	v_add_f32_e32 v23, v14, v15
	s_delay_alu instid0(VALU_DEP_3) | instskip(SKIP_1) | instid1(VALU_DEP_1)
	v_fma_f32 v7, v22, v7, -v6
	v_mul_f32_e32 v6, v25, v13
	v_fmac_f32_e32 v6, v24, v12
	ds_load_2addr_b64 v[10:13], v250 offset1:90
	v_sub_f32_e32 v24, v14, v15
	s_wait_dscnt 0x0
	v_add_f32_e32 v22, v11, v14
	v_add_f32_e32 v14, v10, v19
	v_fma_f32 v11, -0.5, v23, v11
	s_delay_alu instid0(VALU_DEP_3) | instskip(SKIP_1) | instid1(VALU_DEP_4)
	v_dual_add_f32 v15, v22, v15 :: v_dual_add_f32 v22, v19, v21
	v_sub_f32_e32 v19, v19, v21
	v_add_f32_e32 v14, v14, v21
	s_delay_alu instid0(VALU_DEP_3) | instskip(NEXT) | instid1(VALU_DEP_3)
	v_fma_f32 v10, -0.5, v22, v10
	v_fmamk_f32 v38, v19, 0x3f5db3d7, v11
	v_fmac_f32_e32 v11, 0xbf5db3d7, v19
	v_sub_f32_e32 v19, v39, v41
	s_delay_alu instid0(VALU_DEP_4)
	v_fmamk_f32 v37, v24, 0xbf5db3d7, v10
	v_fmac_f32_e32 v10, 0x3f5db3d7, v24
	ds_load_2addr_b64 v[21:24], v195 offset0:52 offset1:142
	ds_load_2addr_b64 v[25:28], v189 offset0:104 offset1:194
	;; [unrolled: 1-line block ×4, first 2 shown]
	global_wb scope:SCOPE_SE
	s_wait_dscnt 0x0
	s_barrier_signal -1
	s_barrier_wait -1
	global_inv scope:SCOPE_SE
	ds_store_b64 v250, v[37:38] offset:2400
	ds_store_b64 v250, v[10:11] offset:4800
	v_dual_add_f32 v10, v12, v39 :: v_dual_add_f32 v11, v13, v40
	v_dual_sub_f32 v37, v44, v46 :: v_dual_sub_f32 v38, v43, v45
	s_delay_alu instid0(VALU_DEP_2) | instskip(SKIP_3) | instid1(VALU_DEP_2)
	v_dual_add_f32 v10, v10, v41 :: v_dual_add_f32 v11, v11, v42
	ds_store_2addr_b64 v250, v[14:15], v[10:11] offset1:90
	v_dual_add_f32 v10, v21, v43 :: v_dual_add_f32 v11, v22, v44
	v_add_f32_e32 v14, v43, v45
	v_dual_add_f32 v10, v10, v45 :: v_dual_add_f32 v11, v11, v46
	s_delay_alu instid0(VALU_DEP_2) | instskip(SKIP_4) | instid1(VALU_DEP_3)
	v_fma_f32 v14, -0.5, v14, v21
	ds_store_b64 v250, v[10:11] offset:1440
	v_dual_add_f32 v10, v39, v41 :: v_dual_sub_f32 v11, v40, v42
	v_fmamk_f32 v21, v37, 0xbf5db3d7, v14
	v_fmac_f32_e32 v14, 0x3f5db3d7, v37
	v_fma_f32 v12, -0.5, v10, v12
	v_add_f32_e32 v10, v40, v42
	s_delay_alu instid0(VALU_DEP_1) | instskip(SKIP_1) | instid1(VALU_DEP_1)
	v_dual_fmac_f32 v13, -0.5, v10 :: v_dual_fmamk_f32 v10, v11, 0xbf5db3d7, v12
	v_dual_fmac_f32 v12, 0x3f5db3d7, v11 :: v_dual_add_f32 v11, v44, v46
	v_fma_f32 v15, -0.5, v11, v22
	s_delay_alu instid0(VALU_DEP_3) | instskip(SKIP_1) | instid1(VALU_DEP_3)
	v_fmamk_f32 v11, v19, 0x3f5db3d7, v13
	v_fmac_f32_e32 v13, 0xbf5db3d7, v19
	v_fmamk_f32 v22, v38, 0x3f5db3d7, v15
	v_fmac_f32_e32 v15, 0xbf5db3d7, v38
	ds_store_2addr_b64 v75, v[12:13], v[14:15] offset0:50 offset1:140
	ds_store_2addr_b64 v189, v[10:11], v[21:22] offset0:134 offset1:224
	scratch_load_b32 v19, off, off offset:264 th:TH_LOAD_LU ; 4-byte Folded Reload
	v_add_f32_e32 v10, v47, v49
	v_dual_add_f32 v12, v23, v47 :: v_dual_add_f32 v11, v24, v48
	v_dual_sub_f32 v14, v48, v50 :: v_dual_sub_f32 v15, v47, v49
	s_delay_alu instid0(VALU_DEP_3) | instskip(SKIP_1) | instid1(VALU_DEP_4)
	v_fma_f32 v23, -0.5, v10, v23
	v_add_f32_e32 v10, v48, v50
	v_add_f32_e32 v11, v11, v50
	;; [unrolled: 1-line block ×3, first 2 shown]
	v_sub_f32_e32 v22, v52, v54
	s_delay_alu instid0(VALU_DEP_4) | instskip(SKIP_3) | instid1(VALU_DEP_4)
	v_fmac_f32_e32 v24, -0.5, v10
	v_add_f32_e32 v10, v12, v49
	v_fmamk_f32 v12, v14, 0xbf5db3d7, v23
	v_dual_fmac_f32 v23, 0x3f5db3d7, v14 :: v_dual_sub_f32 v14, v20, v9
	v_fmamk_f32 v13, v15, 0x3f5db3d7, v24
	v_fmac_f32_e32 v24, 0xbf5db3d7, v15
	v_sub_f32_e32 v15, v53, v55
	s_wait_loadcnt 0x0
	ds_store_b64 v19, v[10:11]
	v_add_f32_e32 v10, v20, v9
	v_add_f32_e32 v11, v8, v51
	ds_store_b64 v19, v[23:24] offset:4800
	ds_store_b64 v19, v[12:13] offset:2400
	v_sub_f32_e32 v13, v8, v51
	v_add_f32_e32 v19, v27, v52
	v_fma_f32 v10, -0.5, v10, v25
	v_fma_f32 v11, -0.5, v11, v26
	s_delay_alu instid0(VALU_DEP_2) | instskip(NEXT) | instid1(VALU_DEP_2)
	v_fmamk_f32 v12, v13, 0xbf5db3d7, v10
	v_dual_fmac_f32 v10, 0x3f5db3d7, v13 :: v_dual_fmamk_f32 v13, v14, 0x3f5db3d7, v11
	v_fmac_f32_e32 v11, 0xbf5db3d7, v14
	v_add_f32_e32 v14, v52, v54
	s_delay_alu instid0(VALU_DEP_1) | instskip(SKIP_1) | instid1(VALU_DEP_1)
	v_fma_f32 v27, -0.5, v14, v27
	v_add_f32_e32 v14, v53, v55
	v_fmac_f32_e32 v28, -0.5, v14
	s_delay_alu instid0(VALU_DEP_3) | instskip(SKIP_1) | instid1(VALU_DEP_3)
	v_fmamk_f32 v14, v15, 0xbf5db3d7, v27
	v_fmac_f32_e32 v27, 0x3f5db3d7, v15
	v_fmamk_f32 v15, v22, 0x3f5db3d7, v28
	v_fmac_f32_e32 v28, 0xbf5db3d7, v22
	ds_store_2addr_b64 v73, v[10:11], v[27:28] offset0:24 offset1:114
	v_add_f32_e32 v10, v25, v20
	v_add_f32_e32 v11, v26, v8
	s_delay_alu instid0(VALU_DEP_1)
	v_dual_add_f32 v8, v10, v9 :: v_dual_add_f32 v9, v11, v51
	v_dual_add_f32 v10, v19, v54 :: v_dual_add_f32 v11, v21, v55
	ds_store_2addr_b64 v61, v[8:9], v[10:11] offset0:64 offset1:154
	ds_store_2addr_b64 v187, v[12:13], v[14:15] offset0:108 offset1:198
	scratch_load_b32 v19, off, off offset:276 th:TH_LOAD_LU ; 4-byte Folded Reload
	v_dual_add_f32 v11, v57, v59 :: v_dual_add_f32 v10, v56, v58
	v_dual_add_f32 v8, v29, v56 :: v_dual_add_f32 v9, v30, v57
	v_sub_f32_e32 v14, v57, v59
	s_delay_alu instid0(VALU_DEP_3) | instskip(NEXT) | instid1(VALU_DEP_4)
	v_fma_f32 v11, -0.5, v11, v30
	v_fma_f32 v10, -0.5, v10, v29
	v_sub_f32_e32 v15, v56, v58
	v_dual_add_f32 v8, v8, v58 :: v_dual_add_f32 v9, v9, v59
	s_delay_alu instid0(VALU_DEP_3) | instskip(NEXT) | instid1(VALU_DEP_3)
	v_fmamk_f32 v12, v14, 0xbf5db3d7, v10
	v_dual_fmamk_f32 v13, v15, 0x3f5db3d7, v11 :: v_dual_fmac_f32 v10, 0x3f5db3d7, v14
	v_fmac_f32_e32 v11, 0xbf5db3d7, v15
	s_wait_loadcnt 0x0
	ds_store_b64 v19, v[8:9]
	ds_store_b64 v19, v[12:13] offset:2400
	ds_store_b64 v19, v[10:11] offset:4800
	scratch_load_b32 v13, off, off offset:288 th:TH_LOAD_LU ; 4-byte Folded Reload
	v_add_f32_e32 v8, v0, v3
	v_add_f32_e32 v10, v31, v0
	;; [unrolled: 1-line block ×3, first 2 shown]
	v_sub_f32_e32 v12, v60, v16
	v_sub_f32_e32 v0, v0, v3
	v_fma_f32 v31, -0.5, v8, v31
	v_add_f32_e32 v8, v60, v16
	v_add_f32_e32 v9, v9, v16
	s_delay_alu instid0(VALU_DEP_2)
	v_fmac_f32_e32 v32, -0.5, v8
	v_add_f32_e32 v8, v10, v3
	v_fmamk_f32 v10, v12, 0xbf5db3d7, v31
	v_fmac_f32_e32 v31, 0x3f5db3d7, v12
	v_add_f32_e32 v3, v34, v5
	v_fmamk_f32 v11, v0, 0x3f5db3d7, v32
	v_fmac_f32_e32 v32, 0xbf5db3d7, v0
	v_add_f32_e32 v0, v33, v1
	s_wait_loadcnt 0x0
	ds_store_b64 v13, v[8:9] offset:14400
	ds_store_b64 v13, v[31:32] offset:19200
	;; [unrolled: 1-line block ×3, first 2 shown]
	scratch_load_b32 v10, off, off offset:308 th:TH_LOAD_LU ; 4-byte Folded Reload
	v_dual_add_f32 v8, v0, v4 :: v_dual_add_f32 v9, v3, v17
	v_add_f32_e32 v0, v5, v17
	v_sub_f32_e32 v3, v5, v17
	v_add_f32_e32 v5, v1, v4
	v_sub_f32_e32 v4, v1, v4
	s_wait_loadcnt 0x0
	ds_store_b64 v10, v[8:9] offset:14400
	v_fma_f32 v8, -0.5, v5, v33
	v_add_f32_e32 v5, v2, v6
	v_fma_f32 v9, -0.5, v0, v34
	s_delay_alu instid0(VALU_DEP_3) | instskip(SKIP_1) | instid1(VALU_DEP_4)
	v_fmamk_f32 v0, v3, 0xbf5db3d7, v8
	v_dual_fmac_f32 v8, 0x3f5db3d7, v3 :: v_dual_add_f32 v3, v35, v2
	v_fma_f32 v35, -0.5, v5, v35
	v_add_f32_e32 v5, v7, v18
	v_fmamk_f32 v1, v4, 0x3f5db3d7, v9
	v_dual_fmac_f32 v9, 0xbf5db3d7, v4 :: v_dual_add_f32 v4, v36, v7
	v_sub_f32_e32 v2, v2, v6
	s_delay_alu instid0(VALU_DEP_4) | instskip(SKIP_1) | instid1(VALU_DEP_4)
	v_dual_fmac_f32 v36, -0.5, v5 :: v_dual_add_f32 v3, v3, v6
	v_sub_f32_e32 v7, v7, v18
	v_add_f32_e32 v4, v4, v18
	ds_store_b64 v10, v[8:9] offset:19200
	v_fmamk_f32 v6, v2, 0x3f5db3d7, v36
	v_fmac_f32_e32 v36, 0xbf5db3d7, v2
	scratch_load_b32 v2, off, off offset:284 th:TH_LOAD_LU ; 4-byte Folded Reload
	v_fmamk_f32 v5, v7, 0xbf5db3d7, v35
	v_fmac_f32_e32 v35, 0x3f5db3d7, v7
	s_wait_loadcnt 0x0
	ds_store_b64 v2, v[35:36] offset:19200
	ds_store_b64 v10, v[0:1] offset:16800
	;; [unrolled: 1-line block ×4, first 2 shown]
	global_wb scope:SCOPE_SE
	s_wait_dscnt 0x0
	s_barrier_signal -1
	s_barrier_wait -1
	global_inv scope:SCOPE_SE
	scratch_load_b128 v[6:9], off, off offset:312 th:TH_LOAD_LU ; 16-byte Folded Reload
	ds_load_2addr_b64 v[0:3], v80 offset0:132 offset1:222
	ds_load_2addr_b64 v[16:19], v186 offset0:112 offset1:202
	;; [unrolled: 1-line block ×3, first 2 shown]
	s_wait_dscnt 0x0
	v_mul_f32_e32 v48, v217, v25
	s_delay_alu instid0(VALU_DEP_1) | instskip(SKIP_2) | instid1(VALU_DEP_1)
	v_fmac_f32_e32 v48, v216, v24
	s_wait_loadcnt 0x0
	v_mul_f32_e32 v26, v7, v1
	v_fmac_f32_e32 v26, v6, v0
	v_mul_f32_e32 v0, v7, v0
	s_delay_alu instid0(VALU_DEP_1) | instskip(SKIP_4) | instid1(VALU_DEP_2)
	v_fma_f32 v27, v6, v1, -v0
	ds_load_2addr_b64 v[4:7], v191 offset0:8 offset1:98
	s_wait_dscnt 0x0
	v_mul_f32_e32 v28, v9, v5
	v_mul_f32_e32 v0, v9, v4
	v_fmac_f32_e32 v28, v8, v4
	s_delay_alu instid0(VALU_DEP_2)
	v_fma_f32 v29, v8, v5, -v0
	scratch_load_b128 v[8:11], off, off offset:292 th:TH_LOAD_LU ; 16-byte Folded Reload
	s_wait_loadcnt 0x0
	v_mul_f32_e32 v0, v9, v2
	v_mul_f32_e32 v40, v9, v3
	;; [unrolled: 1-line block ×3, first 2 shown]
	s_delay_alu instid0(VALU_DEP_3) | instskip(SKIP_1) | instid1(VALU_DEP_4)
	v_fma_f32 v41, v8, v3, -v0
	v_mul_f32_e32 v0, v11, v6
	v_fmac_f32_e32 v40, v8, v2
	s_delay_alu instid0(VALU_DEP_4) | instskip(NEXT) | instid1(VALU_DEP_3)
	v_fmac_f32_e32 v42, v10, v6
	v_fma_f32 v43, v10, v7, -v0
	ds_load_2addr_b64 v[0:3], v193 offset0:56 offset1:146
	ds_load_2addr_b64 v[7:10], v184 offset0:60 offset1:150
	s_wait_dscnt 0x1
	v_mul_f32_e32 v4, v77, v1
	v_mul_f32_e32 v12, v203, v3
	s_delay_alu instid0(VALU_DEP_2) | instskip(SKIP_1) | instid1(VALU_DEP_3)
	v_fmac_f32_e32 v4, v76, v0
	v_mul_f32_e32 v0, v77, v0
	v_fmac_f32_e32 v12, v202, v2
	v_mul_f32_e32 v2, v203, v2
	s_delay_alu instid0(VALU_DEP_3) | instskip(SKIP_2) | instid1(VALU_DEP_3)
	v_fma_f32 v6, v76, v1, -v0
	s_wait_dscnt 0x0
	v_mul_f32_e32 v1, v79, v7
	v_fma_f32 v15, v202, v3, -v2
	v_mul_f32_e32 v2, v205, v10
	v_dual_mul_f32 v3, v205, v9 :: v_dual_mul_f32 v0, v79, v8
	s_delay_alu instid0(VALU_DEP_4) | instskip(NEXT) | instid1(VALU_DEP_3)
	v_fma_f32 v1, v78, v8, -v1
	v_fmac_f32_e32 v2, v204, v9
	s_delay_alu instid0(VALU_DEP_3) | instskip(SKIP_4) | instid1(VALU_DEP_2)
	v_fma_f32 v3, v204, v10, -v3
	ds_load_2addr_b64 v[8:11], v187 offset0:108 offset1:198
	s_wait_dscnt 0x0
	v_dual_fmac_f32 v0, v78, v7 :: v_dual_mul_f32 v7, v177, v9
	v_mul_f32_e32 v5, v177, v8
	v_fmac_f32_e32 v7, v176, v8
	v_mul_f32_e32 v8, v179, v16
	s_delay_alu instid0(VALU_DEP_3) | instskip(SKIP_1) | instid1(VALU_DEP_3)
	v_fma_f32 v9, v176, v9, -v5
	v_mul_f32_e32 v5, v179, v17
	v_fma_f32 v8, v178, v17, -v8
	v_mul_f32_e32 v17, v207, v11
	s_delay_alu instid0(VALU_DEP_3) | instskip(NEXT) | instid1(VALU_DEP_2)
	v_dual_fmac_f32 v5, v178, v16 :: v_dual_mul_f32 v16, v213, v22
	v_fmac_f32_e32 v17, v206, v10
	v_mul_f32_e32 v10, v207, v10
	s_delay_alu instid0(VALU_DEP_3) | instskip(NEXT) | instid1(VALU_DEP_2)
	v_fma_f32 v16, v212, v23, -v16
	v_fma_f32 v44, v206, v11, -v10
	v_mul_f32_e32 v10, v209, v19
	v_mul_f32_e32 v11, v209, v18
	s_delay_alu instid0(VALU_DEP_2) | instskip(NEXT) | instid1(VALU_DEP_2)
	v_fmac_f32_e32 v10, v208, v18
	v_fma_f32 v11, v208, v19, -v11
	ds_load_2addr_b64 v[18:21], v74 offset0:160 offset1:250
	s_wait_dscnt 0x0
	v_mul_f32_e32 v14, v211, v19
	v_mul_f32_e32 v13, v211, v18
	;; [unrolled: 1-line block ×3, first 2 shown]
	s_delay_alu instid0(VALU_DEP_3) | instskip(SKIP_1) | instid1(VALU_DEP_4)
	v_fmac_f32_e32 v14, v210, v18
	v_mul_f32_e32 v18, v215, v20
	v_fma_f32 v45, v210, v19, -v13
	s_delay_alu instid0(VALU_DEP_4) | instskip(NEXT) | instid1(VALU_DEP_3)
	v_dual_fmac_f32 v46, v214, v20 :: v_dual_mul_f32 v13, v213, v23
	v_fma_f32 v47, v214, v21, -v18
	s_delay_alu instid0(VALU_DEP_2) | instskip(NEXT) | instid1(VALU_DEP_1)
	v_dual_mul_f32 v18, v217, v24 :: v_dual_fmac_f32 v13, v212, v22
	v_fma_f32 v49, v216, v25, -v18
	ds_load_2addr_b64 v[18:21], v73 offset0:84 offset1:174
	ds_load_2addr_b64 v[22:25], v65 offset0:88 offset1:178
	s_wait_dscnt 0x1
	v_mul_f32_e32 v50, v219, v19
	v_mul_f32_e32 v54, v227, v21
	s_wait_dscnt 0x0
	v_mul_f32_e32 v52, v221, v23
	v_mul_f32_e32 v56, v229, v25
	v_fmac_f32_e32 v50, v218, v18
	v_mul_f32_e32 v18, v219, v18
	v_fmac_f32_e32 v54, v226, v20
	v_fmac_f32_e32 v52, v220, v22
	;; [unrolled: 1-line block ×3, first 2 shown]
	s_delay_alu instid0(VALU_DEP_4) | instskip(NEXT) | instid1(VALU_DEP_3)
	v_fma_f32 v51, v218, v19, -v18
	v_dual_mul_f32 v18, v221, v22 :: v_dual_sub_f32 v59, v50, v52
	s_delay_alu instid0(VALU_DEP_1) | instskip(SKIP_2) | instid1(VALU_DEP_3)
	v_fma_f32 v53, v220, v23, -v18
	v_mul_f32_e32 v18, v227, v20
	v_add_f32_e32 v23, v27, v29
	v_sub_f32_e32 v58, v51, v53
	s_delay_alu instid0(VALU_DEP_3) | instskip(SKIP_2) | instid1(VALU_DEP_2)
	v_fma_f32 v55, v226, v21, -v18
	v_mul_f32_e32 v18, v229, v24
	v_sub_f32_e32 v24, v27, v29
	v_fma_f32 v57, v228, v25, -v18
	ds_load_2addr_b64 v[18:21], v250 offset1:90
	s_wait_dscnt 0x0
	v_dual_sub_f32 v25, v26, v28 :: v_dual_add_f32 v22, v19, v27
	v_fma_f32 v19, -0.5, v23, v19
	s_delay_alu instid0(VALU_DEP_2) | instskip(NEXT) | instid1(VALU_DEP_2)
	v_add_f32_e32 v39, v22, v29
	v_dual_add_f32 v22, v18, v26 :: v_dual_fmamk_f32 v23, v25, 0x3f5db3d7, v19
	s_delay_alu instid0(VALU_DEP_1) | instskip(SKIP_1) | instid1(VALU_DEP_1)
	v_dual_fmac_f32 v19, 0xbf5db3d7, v25 :: v_dual_add_f32 v38, v22, v28
	v_add_f32_e32 v22, v26, v28
	v_fma_f32 v18, -0.5, v22, v18
	s_delay_alu instid0(VALU_DEP_1)
	v_fmamk_f32 v22, v24, 0xbf5db3d7, v18
	v_fmac_f32_e32 v18, 0x3f5db3d7, v24
	ds_store_b64 v250, v[22:23] offset:7200
	ds_store_b64 v250, v[18:19] offset:14400
	v_dual_add_f32 v18, v20, v40 :: v_dual_add_f32 v19, v21, v41
	ds_load_2addr_b64 v[22:25], v195 offset0:52 offset1:142
	ds_load_2addr_b64 v[26:29], v189 offset0:104 offset1:194
	ds_load_2addr_b64 v[30:33], v242 offset0:28 offset1:118
	ds_load_2addr_b64 v[34:37], v75 offset0:80 offset1:170
	v_dual_add_f32 v18, v18, v42 :: v_dual_add_f32 v19, v19, v43
	ds_store_2addr_b64 v250, v[38:39], v[18:19] offset1:90
	v_dual_add_f32 v18, v40, v42 :: v_dual_sub_f32 v19, v41, v43
	v_dual_sub_f32 v38, v40, v42 :: v_dual_add_f32 v39, v6, v1
	v_sub_f32_e32 v42, v4, v0
	s_delay_alu instid0(VALU_DEP_3)
	v_fma_f32 v20, -0.5, v18, v20
	v_dual_add_f32 v18, v41, v43 :: v_dual_sub_f32 v41, v6, v1
	s_wait_dscnt 0x4
	v_fma_f32 v39, -0.5, v39, v23
	s_wait_dscnt 0x2
	v_dual_add_f32 v43, v33, v47 :: v_dual_add_f32 v60, v24, v12
	v_dual_fmac_f32 v21, -0.5, v18 :: v_dual_fmamk_f32 v18, v19, 0xbf5db3d7, v20
	v_fmac_f32_e32 v20, 0x3f5db3d7, v19
	v_add_f32_e32 v62, v29, v44
	s_delay_alu instid0(VALU_DEP_3) | instskip(SKIP_2) | instid1(VALU_DEP_3)
	v_dual_add_f32 v6, v23, v6 :: v_dual_fmamk_f32 v19, v38, 0x3f5db3d7, v21
	v_dual_fmac_f32 v21, 0xbf5db3d7, v38 :: v_dual_add_f32 v38, v4, v0
	v_add_f32_e32 v4, v22, v4
	v_add_f32_e32 v1, v6, v1
	s_delay_alu instid0(VALU_DEP_3) | instskip(NEXT) | instid1(VALU_DEP_3)
	v_fma_f32 v38, -0.5, v38, v22
	v_add_f32_e32 v0, v4, v0
	s_delay_alu instid0(VALU_DEP_2)
	v_fmamk_f32 v40, v41, 0xbf5db3d7, v38
	v_dual_fmac_f32 v38, 0x3f5db3d7, v41 :: v_dual_fmamk_f32 v41, v42, 0x3f5db3d7, v39
	v_fmac_f32_e32 v39, 0xbf5db3d7, v42
	ds_store_2addr_b64 v191, v[20:21], v[38:39] offset0:98 offset1:188
	ds_store_2addr_b64 v61, v[18:19], v[40:41] offset0:94 offset1:184
	v_add_f32_e32 v18, v46, v48
	v_dual_add_f32 v42, v32, v46 :: v_dual_add_f32 v19, v51, v53
	v_sub_f32_e32 v46, v46, v48
	v_add_nc_u32_e32 v40, 0x2c00, v250
	s_delay_alu instid0(VALU_DEP_4)
	v_fma_f32 v32, -0.5, v18, v32
	v_add_f32_e32 v18, v47, v49
	s_wait_dscnt 0x3
	v_fma_f32 v19, -0.5, v19, v35
	v_sub_f32_e32 v47, v47, v49
	v_add_f32_e32 v61, v25, v15
	v_dual_fmac_f32 v33, -0.5, v18 :: v_dual_add_f32 v18, v50, v52
	s_delay_alu instid0(VALU_DEP_3) | instskip(SKIP_1) | instid1(VALU_DEP_3)
	v_fmamk_f32 v20, v47, 0xbf5db3d7, v32
	v_dual_fmamk_f32 v39, v59, 0x3f5db3d7, v19 :: v_dual_fmac_f32 v32, 0x3f5db3d7, v47
	v_fmamk_f32 v21, v46, 0x3f5db3d7, v33
	s_delay_alu instid0(VALU_DEP_4) | instskip(SKIP_1) | instid1(VALU_DEP_2)
	v_fma_f32 v18, -0.5, v18, v34
	v_fmac_f32_e32 v33, 0xbf5db3d7, v46
	v_dual_fmac_f32 v19, 0xbf5db3d7, v59 :: v_dual_fmamk_f32 v38, v58, 0xbf5db3d7, v18
	v_fmac_f32_e32 v18, 0x3f5db3d7, v58
	ds_store_2addr_b64 v40, v[20:21], v[38:39] offset0:122 offset1:212
	v_add_f32_e32 v20, v12, v2
	v_sub_f32_e32 v12, v12, v2
	v_add_f32_e32 v2, v60, v2
	ds_store_2addr_b64 v72, v[32:33], v[18:19] offset0:126 offset1:216
	v_fma_f32 v24, -0.5, v20, v24
	v_add_f32_e32 v20, v15, v3
	v_sub_f32_e32 v15, v15, v3
	v_add_f32_e32 v3, v61, v3
	s_delay_alu instid0(VALU_DEP_2) | instskip(SKIP_1) | instid1(VALU_DEP_2)
	v_dual_fmac_f32 v25, -0.5, v20 :: v_dual_fmamk_f32 v20, v15, 0xbf5db3d7, v24
	v_dual_fmac_f32 v24, 0x3f5db3d7, v15 :: v_dual_add_f32 v15, v9, v8
	v_fmamk_f32 v21, v12, 0x3f5db3d7, v25
	v_dual_fmac_f32 v25, 0xbf5db3d7, v12 :: v_dual_add_f32 v12, v7, v5
	s_delay_alu instid0(VALU_DEP_3) | instskip(SKIP_1) | instid1(VALU_DEP_3)
	v_fma_f32 v39, -0.5, v15, v27
	v_add_f32_e32 v15, v28, v17
	v_fma_f32 v38, -0.5, v12, v26
	v_dual_sub_f32 v12, v9, v8 :: v_dual_add_f32 v9, v27, v9
	s_delay_alu instid0(VALU_DEP_1) | instskip(SKIP_2) | instid1(VALU_DEP_1)
	v_fmamk_f32 v40, v12, 0xbf5db3d7, v38
	v_fmac_f32_e32 v38, 0x3f5db3d7, v12
	v_dual_sub_f32 v12, v7, v5 :: v_dual_add_f32 v7, v26, v7
	v_fmamk_f32 v41, v12, 0x3f5db3d7, v39
	v_dual_fmac_f32 v39, 0xbf5db3d7, v12 :: v_dual_add_f32 v12, v17, v10
	ds_store_2addr_b64 v186, v[24:25], v[38:39] offset0:22 offset1:112
	v_fma_f32 v28, -0.5, v12, v28
	v_add_f32_e32 v12, v44, v11
	s_delay_alu instid0(VALU_DEP_1) | instskip(NEXT) | instid1(VALU_DEP_1)
	v_dual_fmac_f32 v29, -0.5, v12 :: v_dual_sub_f32 v12, v44, v11
	v_fmamk_f32 v22, v12, 0xbf5db3d7, v28
	v_fmac_f32_e32 v28, 0x3f5db3d7, v12
	v_sub_f32_e32 v12, v17, v10
	v_add_f32_e32 v17, v45, v16
	s_delay_alu instid0(VALU_DEP_2) | instskip(SKIP_1) | instid1(VALU_DEP_3)
	v_fmamk_f32 v23, v12, 0x3f5db3d7, v29
	v_dual_fmac_f32 v29, 0xbf5db3d7, v12 :: v_dual_add_f32 v12, v14, v13
	v_fma_f32 v25, -0.5, v17, v31
	s_delay_alu instid0(VALU_DEP_2) | instskip(SKIP_1) | instid1(VALU_DEP_1)
	v_fma_f32 v24, -0.5, v12, v30
	v_sub_f32_e32 v12, v45, v16
	v_fmamk_f32 v38, v12, 0xbf5db3d7, v24
	v_fmac_f32_e32 v24, 0x3f5db3d7, v12
	v_sub_f32_e32 v12, v14, v13
	s_delay_alu instid0(VALU_DEP_1)
	v_fmamk_f32 v39, v12, 0x3f5db3d7, v25
	v_fmac_f32_e32 v25, 0xbf5db3d7, v12
	v_add_nc_u32_e32 v12, 0x4400, v250
	ds_store_2addr_b64 v12, v[28:29], v[24:25] offset0:74 offset1:164
	v_add_f32_e32 v12, v30, v14
	v_add_f32_e32 v14, v31, v45
	ds_store_2addr_b64 v195, v[0:1], v[2:3] offset0:52 offset1:142
	ds_store_2addr_b64 v193, v[20:21], v[40:41] offset0:146 offset1:236
	v_dual_add_f32 v0, v7, v5 :: v_dual_add_f32 v1, v9, v8
	v_dual_add_f32 v2, v15, v10 :: v_dual_add_f32 v3, v62, v11
	ds_store_2addr_b64 v189, v[0:1], v[2:3] offset0:104 offset1:194
	ds_store_2addr_b64 v74, v[22:23], v[38:39] offset0:70 offset1:160
	v_dual_add_f32 v0, v12, v13 :: v_dual_add_f32 v1, v14, v16
	v_dual_add_f32 v2, v42, v48 :: v_dual_add_f32 v3, v43, v49
	ds_store_2addr_b64 v242, v[0:1], v[2:3] offset0:28 offset1:118
	v_dual_add_f32 v0, v34, v50 :: v_dual_add_f32 v1, v35, v51
	v_dual_add_f32 v2, v36, v54 :: v_dual_add_f32 v3, v37, v55
	s_delay_alu instid0(VALU_DEP_2) | instskip(NEXT) | instid1(VALU_DEP_2)
	v_dual_add_f32 v0, v0, v52 :: v_dual_add_f32 v1, v1, v53
	v_dual_add_f32 v2, v2, v56 :: v_dual_add_f32 v3, v3, v57
	ds_store_2addr_b64 v75, v[0:1], v[2:3] offset0:80 offset1:170
	v_dual_add_f32 v0, v54, v56 :: v_dual_sub_f32 v1, v55, v57
	v_sub_f32_e32 v2, v54, v56
	s_delay_alu instid0(VALU_DEP_2) | instskip(SKIP_1) | instid1(VALU_DEP_1)
	v_fma_f32 v36, -0.5, v0, v36
	v_add_f32_e32 v0, v55, v57
	v_dual_fmac_f32 v37, -0.5, v0 :: v_dual_fmamk_f32 v0, v1, 0xbf5db3d7, v36
	s_delay_alu instid0(VALU_DEP_1)
	v_dual_fmac_f32 v36, 0x3f5db3d7, v1 :: v_dual_fmamk_f32 v1, v2, 0x3f5db3d7, v37
	v_fmac_f32_e32 v37, 0xbf5db3d7, v2
	ds_store_b64 v250, v[36:37] offset:20880
	ds_store_b64 v250, v[0:1] offset:13680
	global_wb scope:SCOPE_SE
	s_wait_dscnt 0x0
	s_barrier_signal -1
	s_barrier_wait -1
	global_inv scope:SCOPE_SE
	scratch_load_b64 v[5:6], off, off offset:240 th:TH_LOAD_LU ; 8-byte Folded Reload
	ds_load_2addr_b64 v[1:4], v250 offset1:90
	scratch_load_b64 v[9:10], off, off offset:224 th:TH_LOAD_LU ; 8-byte Folded Reload
	ds_load_2addr_b64 v[13:16], v191 offset0:8 offset1:98
	scratch_load_b64 v[18:19], off, off offset:208 th:TH_LOAD_LU ; 8-byte Folded Reload
	ds_load_2addr_b64 v[25:28], v184 offset0:60 offset1:150
	s_clause 0xc
	scratch_load_b64 v[46:47], off, off offset:64 th:TH_LOAD_LU
	scratch_load_b64 v[54:55], off, off offset:72 th:TH_LOAD_LU
	;; [unrolled: 1-line block ×13, first 2 shown]
	s_wait_loadcnt_dscnt 0xf02
	v_mul_f32_e32 v0, v6, v2
	s_delay_alu instid0(VALU_DEP_1) | instskip(SKIP_1) | instid1(VALU_DEP_1)
	v_fmac_f32_e32 v0, v5, v1
	v_mul_f32_e32 v1, v6, v1
	v_fma_f32 v1, v5, v2, -v1
	scratch_load_b64 v[5:6], off, off offset:232 th:TH_LOAD_LU ; 8-byte Folded Reload
	s_wait_loadcnt 0x0
	v_mul_f32_e32 v2, v6, v4
	s_delay_alu instid0(VALU_DEP_1) | instskip(SKIP_1) | instid1(VALU_DEP_1)
	v_fmac_f32_e32 v2, v5, v3
	v_mul_f32_e32 v3, v6, v3
	v_fma_f32 v3, v5, v4, -v3
	ds_load_2addr_b64 v[5:8], v80 offset0:132 offset1:222
	s_wait_dscnt 0x0
	v_mul_f32_e32 v4, v10, v6
	s_delay_alu instid0(VALU_DEP_1) | instskip(SKIP_1) | instid1(VALU_DEP_1)
	v_fmac_f32_e32 v4, v9, v5
	v_mul_f32_e32 v5, v10, v5
	v_fma_f32 v5, v9, v6, -v5
	scratch_load_b64 v[9:10], off, off offset:216 th:TH_LOAD_LU ; 8-byte Folded Reload
	s_wait_loadcnt 0x0
	v_mul_f32_e32 v6, v10, v8
	s_delay_alu instid0(VALU_DEP_1) | instskip(SKIP_1) | instid1(VALU_DEP_1)
	v_fmac_f32_e32 v6, v9, v7
	v_mul_f32_e32 v7, v10, v7
	v_fma_f32 v8, v9, v8, -v7
	scratch_load_b64 v[9:10], off, off offset:192 th:TH_LOAD_LU ; 8-byte Folded Reload
	s_wait_loadcnt 0x0
	v_mul_f32_e32 v12, v10, v14
	v_mul_f32_e32 v7, v10, v13
	scratch_load_b64 v[10:11], off, off offset:200 th:TH_LOAD_LU ; 8-byte Folded Reload
	v_fmac_f32_e32 v12, v9, v13
	v_fma_f32 v13, v9, v14, -v7
	s_wait_loadcnt 0x0
	v_mul_f32_e32 v9, v11, v16
	v_mul_f32_e32 v7, v11, v15
	s_delay_alu instid0(VALU_DEP_2) | instskip(NEXT) | instid1(VALU_DEP_2)
	v_fmac_f32_e32 v9, v10, v15
	v_fma_f32 v10, v10, v16, -v7
	ds_load_2addr_b64 v[14:17], v195 offset0:52 offset1:142
	s_wait_dscnt 0x0
	v_mul_f32_e32 v7, v19, v15
	v_mul_f32_e32 v11, v19, v14
	s_delay_alu instid0(VALU_DEP_2) | instskip(NEXT) | instid1(VALU_DEP_2)
	v_fmac_f32_e32 v7, v18, v14
	v_fma_f32 v11, v18, v15, -v11
	scratch_load_b64 v[18:19], off, off offset:184 th:TH_LOAD_LU ; 8-byte Folded Reload
	s_wait_loadcnt 0x0
	v_mul_f32_e32 v14, v19, v17
	v_mul_f32_e32 v15, v19, v16
	s_delay_alu instid0(VALU_DEP_2) | instskip(NEXT) | instid1(VALU_DEP_2)
	v_fmac_f32_e32 v14, v18, v16
	v_fma_f32 v16, v18, v17, -v15
	ds_load_2addr_b64 v[18:21], v193 offset0:56 offset1:146
	s_wait_dscnt 0x0
	v_mul_f32_e32 v17, v23, v19
	v_mul_f32_e32 v15, v23, v18
	s_delay_alu instid0(VALU_DEP_2) | instskip(NEXT) | instid1(VALU_DEP_2)
	v_fmac_f32_e32 v17, v22, v18
	v_fma_f32 v19, v22, v19, -v15
	scratch_load_b64 v[22:23], off, off offset:176 th:TH_LOAD_LU ; 8-byte Folded Reload
	s_wait_loadcnt 0x0
	v_mul_f32_e32 v15, v23, v21
	v_mul_f32_e32 v18, v23, v20
	s_delay_alu instid0(VALU_DEP_2) | instskip(NEXT) | instid1(VALU_DEP_2)
	v_fmac_f32_e32 v15, v22, v20
	v_fma_f32 v21, v22, v21, -v18
	scratch_load_b64 v[22:23], off, off offset:144 th:TH_LOAD_LU ; 8-byte Folded Reload
	s_wait_loadcnt 0x0
	;; [unrolled: 7-line block ×3, first 2 shown]
	v_mul_f32_e32 v20, v23, v28
	v_mul_f32_e32 v18, v23, v27
	s_delay_alu instid0(VALU_DEP_2) | instskip(NEXT) | instid1(VALU_DEP_2)
	v_fmac_f32_e32 v20, v22, v27
	v_fma_f32 v23, v22, v28, -v18
	ds_load_2addr_b64 v[26:29], v189 offset0:104 offset1:194
	s_wait_dscnt 0x0
	v_mul_f32_e32 v18, v31, v27
	v_mul_f32_e32 v22, v31, v26
	s_delay_alu instid0(VALU_DEP_2) | instskip(NEXT) | instid1(VALU_DEP_2)
	v_fmac_f32_e32 v18, v30, v26
	v_fma_f32 v22, v30, v27, -v22
	scratch_load_b64 v[30:31], off, off offset:120 th:TH_LOAD_LU ; 8-byte Folded Reload
	s_wait_loadcnt 0x0
	v_mul_f32_e32 v26, v31, v29
	v_mul_f32_e32 v27, v31, v28
	s_delay_alu instid0(VALU_DEP_2) | instskip(NEXT) | instid1(VALU_DEP_2)
	v_fmac_f32_e32 v26, v30, v28
	v_fma_f32 v28, v30, v29, -v27
	ds_load_2addr_b64 v[29:32], v187 offset0:108 offset1:198
	s_wait_dscnt 0x0
	v_mul_f32_e32 v34, v36, v30
	v_mul_f32_e32 v27, v36, v29
	scratch_load_b64 v[36:37], off, off offset:112 th:TH_LOAD_LU ; 8-byte Folded Reload
	v_fmac_f32_e32 v34, v35, v29
	v_fma_f32 v35, v35, v30, -v27
	s_wait_loadcnt 0x0
	v_mul_f32_e32 v27, v37, v32
	v_mul_f32_e32 v29, v37, v31
	scratch_load_b64 v[37:38], off, off offset:104 th:TH_LOAD_LU ; 8-byte Folded Reload
	v_fmac_f32_e32 v27, v36, v31
	v_fma_f32 v29, v36, v32, -v29
	ds_load_2addr_b64 v[30:33], v186 offset0:112 offset1:202
	s_wait_loadcnt_dscnt 0x0
	v_mul_f32_e32 v36, v38, v31
	s_delay_alu instid0(VALU_DEP_1)
	v_fmac_f32_e32 v36, v37, v30
	v_mul_f32_e32 v30, v38, v30
	scratch_load_b64 v[38:39], off, off offset:136 th:TH_LOAD_LU ; 8-byte Folded Reload
	v_fma_f32 v37, v37, v31, -v30
	s_wait_loadcnt 0x0
	v_mul_f32_e32 v30, v39, v33
	v_mul_f32_e32 v31, v39, v32
	s_delay_alu instid0(VALU_DEP_2) | instskip(NEXT) | instid1(VALU_DEP_2)
	v_fmac_f32_e32 v30, v38, v32
	v_fma_f32 v33, v38, v33, -v31
	ds_load_2addr_b64 v[38:41], v242 offset0:28 offset1:118
	s_wait_dscnt 0x0
	v_mul_f32_e32 v31, v43, v39
	v_dual_mul_f32 v32, v43, v38 :: v_dual_mul_f32 v43, v45, v41
	s_delay_alu instid0(VALU_DEP_2) | instskip(NEXT) | instid1(VALU_DEP_2)
	v_dual_fmac_f32 v31, v42, v38 :: v_dual_mul_f32 v38, v45, v40
	v_fma_f32 v32, v42, v39, -v32
	s_delay_alu instid0(VALU_DEP_3)
	v_fmac_f32_e32 v43, v44, v40
	scratch_load_b32 v42, off, off offset:248 th:TH_LOAD_LU ; 4-byte Folded Reload
	v_fma_f32 v44, v44, v41, -v38
	ds_load_2addr_b64 v[38:41], v74 offset0:160 offset1:250
	s_wait_dscnt 0x0
	v_mul_f32_e32 v45, v47, v39
	s_delay_alu instid0(VALU_DEP_1) | instskip(SKIP_1) | instid1(VALU_DEP_1)
	v_fmac_f32_e32 v45, v46, v38
	v_mul_f32_e32 v38, v47, v38
	v_fma_f32 v46, v46, v39, -v38
	scratch_load_b64 v[38:39], off, off offset:80 th:TH_LOAD_LU ; 8-byte Folded Reload
	s_wait_loadcnt 0x0
	v_mul_f32_e32 v47, v39, v41
	v_dual_mov_b32 v49, v39 :: v_dual_mov_b32 v48, v38
	s_delay_alu instid0(VALU_DEP_2) | instskip(NEXT) | instid1(VALU_DEP_2)
	v_fmac_f32_e32 v47, v38, v40
	v_mul_f32_e32 v38, v49, v40
	s_delay_alu instid0(VALU_DEP_1) | instskip(SKIP_3) | instid1(VALU_DEP_1)
	v_fma_f32 v48, v48, v41, -v38
	ds_load_2addr_b64 v[38:41], v72 offset0:36 offset1:126
	s_wait_dscnt 0x0
	v_mul_f32_e32 v49, v51, v39
	v_fmac_f32_e32 v49, v50, v38
	v_dual_mul_f32 v38, v51, v38 :: v_dual_mul_f32 v51, v53, v41
	s_delay_alu instid0(VALU_DEP_1) | instskip(SKIP_1) | instid1(VALU_DEP_3)
	v_fma_f32 v50, v50, v39, -v38
	v_mul_f32_e32 v38, v53, v40
	v_fmac_f32_e32 v51, v52, v40
	s_delay_alu instid0(VALU_DEP_2) | instskip(SKIP_3) | instid1(VALU_DEP_1)
	v_fma_f32 v52, v52, v41, -v38
	ds_load_2addr_b64 v[38:41], v75 offset0:80 offset1:170
	s_wait_dscnt 0x0
	v_mul_f32_e32 v53, v55, v39
	v_fmac_f32_e32 v53, v54, v38
	v_dual_mul_f32 v38, v55, v38 :: v_dual_mul_f32 v55, v57, v41
	s_delay_alu instid0(VALU_DEP_1) | instskip(SKIP_1) | instid1(VALU_DEP_3)
	v_fma_f32 v54, v54, v39, -v38
	v_mul_f32_e32 v38, v57, v40
	v_fmac_f32_e32 v55, v56, v40
	s_delay_alu instid0(VALU_DEP_2) | instskip(SKIP_3) | instid1(VALU_DEP_1)
	v_fma_f32 v56, v56, v41, -v38
	ds_load_2addr_b64 v[38:41], v73 offset0:84 offset1:174
	s_wait_dscnt 0x0
	v_mul_f32_e32 v57, v59, v39
	v_fmac_f32_e32 v57, v58, v38
	v_dual_mul_f32 v38, v59, v38 :: v_dual_mul_f32 v59, v61, v41
	s_delay_alu instid0(VALU_DEP_1) | instskip(SKIP_1) | instid1(VALU_DEP_3)
	v_fma_f32 v58, v58, v39, -v38
	v_mul_f32_e32 v38, v61, v40
	v_fmac_f32_e32 v59, v60, v40
	s_delay_alu instid0(VALU_DEP_2) | instskip(SKIP_4) | instid1(VALU_DEP_1)
	v_fma_f32 v60, v60, v41, -v38
	ds_load_2addr_b64 v[38:41], v65 offset0:88 offset1:178
	scratch_load_b64 v[64:65], off, off offset:24 th:TH_LOAD_LU ; 8-byte Folded Reload
	s_wait_dscnt 0x0
	v_mul_f32_e32 v61, v63, v39
	v_fmac_f32_e32 v61, v62, v38
	v_mul_f32_e32 v38, v63, v38
	s_delay_alu instid0(VALU_DEP_1) | instskip(SKIP_3) | instid1(VALU_DEP_2)
	v_fma_f32 v62, v62, v39, -v38
	s_wait_loadcnt 0x0
	v_mul_f32_e32 v63, v65, v41
	v_mul_f32_e32 v38, v65, v40
	v_fmac_f32_e32 v63, v64, v40
	s_delay_alu instid0(VALU_DEP_2) | instskip(SKIP_3) | instid1(VALU_DEP_1)
	v_fma_f32 v64, v64, v41, -v38
	scratch_load_b64 v[40:41], off, off th:TH_LOAD_LU ; 8-byte Folded Reload
	s_wait_loadcnt 0x0
	v_mad_co_u64_u32 v[38:39], null, s6, v40, 0
	v_mad_co_u64_u32 v[39:40], null, s7, v40, v[39:40]
	;; [unrolled: 1-line block ×3, first 2 shown]
	s_mov_b32 s6, 0xa0ce5129
	s_mov_b32 s7, 0x3f3845c8
	s_delay_alu instid0(VALU_DEP_2) | instskip(NEXT) | instid1(VALU_DEP_2)
	v_lshlrev_b64_e32 v[38:39], 3, v[38:39]
	v_mad_co_u64_u32 v[41:42], null, s5, v42, v[41:42]
	s_delay_alu instid0(VALU_DEP_2) | instskip(SKIP_1) | instid1(VALU_DEP_3)
	v_add_co_u32 v42, vcc_lo, s0, v38
	s_wait_alu 0xfffd
	v_add_co_ci_u32_e32 v65, vcc_lo, s1, v39, vcc_lo
	s_delay_alu instid0(VALU_DEP_3) | instskip(SKIP_3) | instid1(VALU_DEP_3)
	v_lshlrev_b64_e32 v[38:39], 3, v[40:41]
	v_cvt_f64_f32_e32 v[40:41], v0
	v_cvt_f64_f32_e32 v[0:1], v1
	s_mul_u64 s[0:1], s[4:5], 0x1c20
	v_add_co_u32 v38, vcc_lo, v42, v38
	s_wait_alu 0xfffd
	v_add_co_ci_u32_e32 v39, vcc_lo, v65, v39, vcc_lo
	s_wait_alu 0xfffe
	s_delay_alu instid0(VALU_DEP_4) | instskip(NEXT) | instid1(VALU_DEP_4)
	v_mul_f64_e32 v[40:41], s[6:7], v[40:41]
	v_mul_f64_e32 v[0:1], s[6:7], v[0:1]
	s_delay_alu instid0(VALU_DEP_2) | instskip(NEXT) | instid1(VALU_DEP_2)
	v_cvt_f32_f64_e32 v40, v[40:41]
	v_cvt_f32_f64_e32 v41, v[0:1]
	v_cvt_f64_f32_e32 v[0:1], v4
	v_cvt_f64_f32_e32 v[4:5], v5
	global_store_b64 v[38:39], v[40:41], off
	v_mul_f64_e32 v[0:1], s[6:7], v[0:1]
	v_mul_f64_e32 v[4:5], s[6:7], v[4:5]
	v_cvt_f64_f32_e32 v[40:41], v63
	s_delay_alu instid0(VALU_DEP_3) | instskip(NEXT) | instid1(VALU_DEP_3)
	v_cvt_f32_f64_e32 v0, v[0:1]
	v_cvt_f32_f64_e32 v1, v[4:5]
	v_cvt_f64_f32_e32 v[4:5], v12
	v_cvt_f64_f32_e32 v[12:13], v13
	v_mul_f64_e32 v[40:41], s[6:7], v[40:41]
	s_delay_alu instid0(VALU_DEP_3) | instskip(NEXT) | instid1(VALU_DEP_3)
	v_mul_f64_e32 v[4:5], s[6:7], v[4:5]
	v_mul_f64_e32 v[12:13], s[6:7], v[12:13]
	s_delay_alu instid0(VALU_DEP_2) | instskip(NEXT) | instid1(VALU_DEP_2)
	v_cvt_f32_f64_e32 v4, v[4:5]
	v_cvt_f32_f64_e32 v5, v[12:13]
	v_cvt_f64_f32_e32 v[12:13], v2
	v_cvt_f64_f32_e32 v[2:3], v3
	s_delay_alu instid0(VALU_DEP_2) | instskip(NEXT) | instid1(VALU_DEP_2)
	v_mul_f64_e32 v[12:13], s[6:7], v[12:13]
	v_mul_f64_e32 v[2:3], s[6:7], v[2:3]
	s_delay_alu instid0(VALU_DEP_2) | instskip(NEXT) | instid1(VALU_DEP_2)
	v_cvt_f32_f64_e32 v12, v[12:13]
	v_cvt_f32_f64_e32 v13, v[2:3]
	v_add_co_u32 v2, vcc_lo, v38, s0
	s_wait_alu 0xfffd
	v_add_co_ci_u32_e32 v3, vcc_lo, s1, v39, vcc_lo
	v_cvt_f64_f32_e32 v[38:39], v60
	global_store_b64 v[2:3], v[0:1], off
	v_add_co_u32 v0, vcc_lo, v2, s0
	s_wait_alu 0xfffd
	v_add_co_ci_u32_e32 v1, vcc_lo, s1, v3, vcc_lo
	v_cvt_f64_f32_e32 v[2:3], v6
	global_store_b64 v[0:1], v[4:5], off
	v_cvt_f64_f32_e32 v[4:5], v8
	v_add_co_u32 v0, vcc_lo, v0, s2
	s_wait_alu 0xfffd
	v_add_co_ci_u32_e32 v1, vcc_lo, s3, v1, vcc_lo
	global_store_b64 v[0:1], v[12:13], off
	v_add_co_u32 v0, vcc_lo, v0, s0
	s_wait_alu 0xfffd
	v_add_co_ci_u32_e32 v1, vcc_lo, s1, v1, vcc_lo
	v_cvt_f64_f32_e32 v[12:13], v26
	v_mul_f64_e32 v[38:39], s[6:7], v[38:39]
	v_mul_f64_e32 v[2:3], s[6:7], v[2:3]
	;; [unrolled: 1-line block ×3, first 2 shown]
	s_delay_alu instid0(VALU_DEP_4) | instskip(NEXT) | instid1(VALU_DEP_3)
	v_mul_f64_e32 v[12:13], s[6:7], v[12:13]
	v_cvt_f32_f64_e32 v2, v[2:3]
	s_delay_alu instid0(VALU_DEP_3)
	v_cvt_f32_f64_e32 v3, v[4:5]
	v_cvt_f64_f32_e32 v[4:5], v9
	v_cvt_f64_f32_e32 v[8:9], v10
	v_cvt_f32_f64_e32 v12, v[12:13]
	global_store_b64 v[0:1], v[2:3], off
	v_mul_f64_e32 v[4:5], s[6:7], v[4:5]
	v_mul_f64_e32 v[8:9], s[6:7], v[8:9]
	v_cvt_f64_f32_e32 v[2:3], v7
	v_cvt_f64_f32_e32 v[6:7], v11
	v_add_co_u32 v0, vcc_lo, v0, s0
	s_wait_alu 0xfffd
	v_add_co_ci_u32_e32 v1, vcc_lo, s1, v1, vcc_lo
	v_cvt_f64_f32_e32 v[10:11], v35
	v_cvt_f32_f64_e32 v4, v[4:5]
	v_cvt_f32_f64_e32 v5, v[8:9]
	v_mul_f64_e32 v[2:3], s[6:7], v[2:3]
	v_mul_f64_e32 v[6:7], s[6:7], v[6:7]
	v_cvt_f64_f32_e32 v[8:9], v22
	v_mul_f64_e32 v[10:11], s[6:7], v[10:11]
	global_store_b64 v[0:1], v[4:5], off
	v_cvt_f32_f64_e32 v2, v[2:3]
	v_cvt_f32_f64_e32 v3, v[6:7]
	v_cvt_f64_f32_e32 v[4:5], v17
	v_cvt_f64_f32_e32 v[6:7], v19
	v_add_co_u32 v0, vcc_lo, v0, s2
	s_wait_alu 0xfffd
	v_add_co_ci_u32_e32 v1, vcc_lo, s3, v1, vcc_lo
	v_mul_f64_e32 v[8:9], s[6:7], v[8:9]
	global_store_b64 v[0:1], v[2:3], off
	v_mul_f64_e32 v[4:5], s[6:7], v[4:5]
	v_mul_f64_e32 v[6:7], s[6:7], v[6:7]
	v_cvt_f64_f32_e32 v[2:3], v24
	v_add_co_u32 v0, vcc_lo, v0, s0
	s_wait_alu 0xfffd
	v_add_co_ci_u32_e32 v1, vcc_lo, s1, v1, vcc_lo
	v_cvt_f32_f64_e32 v4, v[4:5]
	v_cvt_f32_f64_e32 v5, v[6:7]
	v_cvt_f64_f32_e32 v[6:7], v25
	v_mul_f64_e32 v[2:3], s[6:7], v[2:3]
	v_cvt_f64_f32_e32 v[24:25], v52
	global_store_b64 v[0:1], v[4:5], off
	v_mul_f64_e32 v[6:7], s[6:7], v[6:7]
	v_cvt_f32_f64_e32 v2, v[2:3]
	v_cvt_f64_f32_e32 v[4:5], v14
	v_add_co_u32 v0, vcc_lo, v0, s0
	s_wait_alu 0xfffd
	v_add_co_ci_u32_e32 v1, vcc_lo, s1, v1, vcc_lo
	v_mul_f64_e32 v[24:25], s[6:7], v[24:25]
	v_cvt_f32_f64_e32 v3, v[6:7]
	v_cvt_f64_f32_e32 v[6:7], v16
	v_mul_f64_e32 v[4:5], s[6:7], v[4:5]
	v_cvt_f64_f32_e32 v[16:17], v29
	global_store_b64 v[0:1], v[2:3], off
	v_mul_f64_e32 v[6:7], s[6:7], v[6:7]
	v_cvt_f32_f64_e32 v4, v[4:5]
	v_cvt_f64_f32_e32 v[2:3], v15
	v_add_co_u32 v0, vcc_lo, v0, s2
	s_wait_alu 0xfffd
	v_add_co_ci_u32_e32 v1, vcc_lo, s3, v1, vcc_lo
	v_cvt_f64_f32_e32 v[14:15], v28
	v_mul_f64_e32 v[16:17], s[6:7], v[16:17]
	v_cvt_f64_f32_e32 v[28:29], v54
	v_cvt_f32_f64_e32 v5, v[6:7]
	v_cvt_f64_f32_e32 v[6:7], v21
	v_mul_f64_e32 v[2:3], s[6:7], v[2:3]
	v_mul_f64_e32 v[14:15], s[6:7], v[14:15]
	;; [unrolled: 1-line block ×3, first 2 shown]
	global_store_b64 v[0:1], v[4:5], off
	v_mul_f64_e32 v[6:7], s[6:7], v[6:7]
	v_cvt_f32_f64_e32 v2, v[2:3]
	v_cvt_f64_f32_e32 v[4:5], v20
	v_add_co_u32 v0, vcc_lo, v0, s0
	s_wait_alu 0xfffd
	v_add_co_ci_u32_e32 v1, vcc_lo, s1, v1, vcc_lo
	v_cvt_f32_f64_e32 v13, v[14:15]
	v_cvt_f64_f32_e32 v[14:15], v31
	v_cvt_f64_f32_e32 v[20:21], v32
	v_cvt_f32_f64_e32 v3, v[6:7]
	v_cvt_f64_f32_e32 v[6:7], v23
	v_mul_f64_e32 v[4:5], s[6:7], v[4:5]
	v_cvt_f64_f32_e32 v[22:23], v46
	v_mul_f64_e32 v[14:15], s[6:7], v[14:15]
	v_mul_f64_e32 v[20:21], s[6:7], v[20:21]
	global_store_b64 v[0:1], v[2:3], off
	v_mul_f64_e32 v[6:7], s[6:7], v[6:7]
	v_cvt_f32_f64_e32 v4, v[4:5]
	v_cvt_f64_f32_e32 v[2:3], v34
	v_add_co_u32 v0, vcc_lo, v0, s0
	s_wait_alu 0xfffd
	v_add_co_ci_u32_e32 v1, vcc_lo, s1, v1, vcc_lo
	v_cvt_f32_f64_e32 v14, v[14:15]
	v_cvt_f32_f64_e32 v15, v[20:21]
	v_mul_f64_e32 v[22:23], s[6:7], v[22:23]
	v_cvt_f64_f32_e32 v[34:35], v58
	v_cvt_f32_f64_e32 v5, v[6:7]
	v_cvt_f64_f32_e32 v[6:7], v18
	v_mul_f64_e32 v[2:3], s[6:7], v[2:3]
	v_cvt_f64_f32_e32 v[18:19], v33
	v_cvt_f64_f32_e32 v[32:33], v57
	v_mul_f64_e32 v[34:35], s[6:7], v[34:35]
	global_store_b64 v[0:1], v[4:5], off
	v_mul_f64_e32 v[6:7], s[6:7], v[6:7]
	v_cvt_f64_f32_e32 v[4:5], v36
	v_cvt_f32_f64_e32 v2, v[2:3]
	v_cvt_f32_f64_e32 v3, v[10:11]
	v_cvt_f64_f32_e32 v[10:11], v27
	v_mul_f64_e32 v[18:19], s[6:7], v[18:19]
	v_add_co_u32 v0, vcc_lo, v0, s2
	s_wait_alu 0xfffd
	v_add_co_ci_u32_e32 v1, vcc_lo, s3, v1, vcc_lo
	v_cvt_f64_f32_e32 v[26:27], v53
	v_mul_f64_e32 v[32:33], s[6:7], v[32:33]
	v_cvt_f32_f64_e32 v6, v[6:7]
	v_cvt_f32_f64_e32 v7, v[8:9]
	v_cvt_f64_f32_e32 v[8:9], v37
	v_mul_f64_e32 v[4:5], s[6:7], v[4:5]
	v_mul_f64_e32 v[10:11], s[6:7], v[10:11]
	v_cvt_f64_f32_e32 v[36:37], v59
	v_mul_f64_e32 v[26:27], s[6:7], v[26:27]
	global_store_b64 v[0:1], v[6:7], off
	v_mul_f64_e32 v[8:9], s[6:7], v[8:9]
	v_cvt_f32_f64_e32 v4, v[4:5]
	v_cvt_f32_f64_e32 v10, v[10:11]
	;; [unrolled: 1-line block ×3, first 2 shown]
	v_cvt_f64_f32_e32 v[16:17], v45
	v_cvt_f64_f32_e32 v[6:7], v43
	v_cvt_f64_f32_e32 v[42:43], v64
	v_mul_f64_e32 v[36:37], s[6:7], v[36:37]
	v_cvt_f32_f64_e32 v5, v[8:9]
	v_cvt_f64_f32_e32 v[8:9], v30
	v_mul_f64_e32 v[16:17], s[6:7], v[16:17]
	v_mul_f64_e32 v[6:7], s[6:7], v[6:7]
	;; [unrolled: 1-line block ×3, first 2 shown]
	s_delay_alu instid0(VALU_DEP_4) | instskip(NEXT) | instid1(VALU_DEP_1)
	v_mul_f64_e32 v[8:9], s[6:7], v[8:9]
	v_cvt_f32_f64_e32 v8, v[8:9]
	v_cvt_f32_f64_e32 v9, v[18:19]
	v_add_co_u32 v18, vcc_lo, v0, s0
	s_wait_alu 0xfffd
	v_add_co_ci_u32_e32 v19, vcc_lo, s1, v1, vcc_lo
	s_delay_alu instid0(VALU_DEP_2) | instskip(SKIP_1) | instid1(VALU_DEP_2)
	v_add_co_u32 v20, vcc_lo, v18, s0
	s_wait_alu 0xfffd
	v_add_co_ci_u32_e32 v21, vcc_lo, s1, v19, vcc_lo
	global_store_b64 v[18:19], v[2:3], off
	global_store_b64 v[20:21], v[4:5], off
	v_add_co_u32 v0, vcc_lo, v20, s2
	s_wait_alu 0xfffd
	v_add_co_ci_u32_e32 v1, vcc_lo, s3, v21, vcc_lo
	v_cvt_f64_f32_e32 v[2:3], v49
	v_cvt_f64_f32_e32 v[4:5], v50
	;; [unrolled: 1-line block ×3, first 2 shown]
	global_store_b64 v[0:1], v[12:13], off
	v_add_co_u32 v0, vcc_lo, v0, s0
	s_wait_alu 0xfffd
	v_add_co_ci_u32_e32 v1, vcc_lo, s1, v1, vcc_lo
	v_cvt_f64_f32_e32 v[20:21], v51
	s_delay_alu instid0(VALU_DEP_3) | instskip(SKIP_1) | instid1(VALU_DEP_3)
	v_add_co_u32 v12, vcc_lo, v0, s0
	s_wait_alu 0xfffd
	v_add_co_ci_u32_e32 v13, vcc_lo, s1, v1, vcc_lo
	global_store_b64 v[0:1], v[10:11], off
	v_cvt_f64_f32_e32 v[0:1], v44
	v_cvt_f64_f32_e32 v[10:11], v47
	v_add_co_u32 v30, vcc_lo, v12, s2
	s_wait_alu 0xfffd
	v_add_co_ci_u32_e32 v31, vcc_lo, s3, v13, vcc_lo
	global_store_b64 v[12:13], v[8:9], off
	global_store_b64 v[30:31], v[14:15], off
	v_cvt_f32_f64_e32 v8, v[16:17]
	v_cvt_f64_f32_e32 v[12:13], v61
	v_cvt_f64_f32_e32 v[14:15], v62
	v_add_co_u32 v16, vcc_lo, v30, s0
	v_cvt_f32_f64_e32 v9, v[22:23]
	s_wait_alu 0xfffd
	v_add_co_ci_u32_e32 v17, vcc_lo, s1, v31, vcc_lo
	v_cvt_f64_f32_e32 v[22:23], v55
	v_cvt_f64_f32_e32 v[30:31], v56
	v_mul_f64_e32 v[2:3], s[6:7], v[2:3]
	v_mul_f64_e32 v[4:5], s[6:7], v[4:5]
	;; [unrolled: 1-line block ×8, first 2 shown]
	global_store_b64 v[16:17], v[8:9], off
	v_mul_f64_e32 v[22:23], s[6:7], v[22:23]
	v_mul_f64_e32 v[30:31], s[6:7], v[30:31]
	v_cvt_f32_f64_e32 v2, v[2:3]
	v_cvt_f32_f64_e32 v3, v[4:5]
	;; [unrolled: 1-line block ×10, first 2 shown]
	v_add_co_u32 v18, vcc_lo, v16, s0
	s_wait_alu 0xfffd
	v_add_co_ci_u32_e32 v19, vcc_lo, s1, v17, vcc_lo
	v_cvt_f32_f64_e32 v10, v[26:27]
	s_delay_alu instid0(VALU_DEP_3)
	v_add_co_u32 v24, vcc_lo, v18, s2
	v_cvt_f32_f64_e32 v11, v[28:29]
	s_wait_alu 0xfffd
	v_add_co_ci_u32_e32 v25, vcc_lo, s3, v19, vcc_lo
	v_cvt_f32_f64_e32 v12, v[12:13]
	v_cvt_f32_f64_e32 v13, v[14:15]
	v_add_co_u32 v14, vcc_lo, v24, s0
	s_wait_alu 0xfffd
	v_add_co_ci_u32_e32 v15, vcc_lo, s1, v25, vcc_lo
	v_cvt_f32_f64_e32 v22, v[22:23]
	v_cvt_f32_f64_e32 v23, v[30:31]
	;; [unrolled: 1-line block ×6, first 2 shown]
	v_add_co_u32 v30, vcc_lo, v14, s0
	s_wait_alu 0xfffd
	v_add_co_ci_u32_e32 v31, vcc_lo, s1, v15, vcc_lo
	global_store_b64 v[18:19], v[2:3], off
	v_add_co_u32 v8, vcc_lo, v30, s2
	s_wait_alu 0xfffd
	v_add_co_ci_u32_e32 v9, vcc_lo, s3, v31, vcc_lo
	s_delay_alu instid0(VALU_DEP_2) | instskip(SKIP_1) | instid1(VALU_DEP_2)
	v_add_co_u32 v2, vcc_lo, v8, s0
	s_wait_alu 0xfffd
	v_add_co_ci_u32_e32 v3, vcc_lo, s1, v9, vcc_lo
	global_store_b64 v[24:25], v[4:5], off
	v_add_co_u32 v4, vcc_lo, v2, s0
	s_wait_alu 0xfffd
	v_add_co_ci_u32_e32 v5, vcc_lo, s1, v3, vcc_lo
	global_store_b64 v[14:15], v[0:1], off
	;; [unrolled: 4-line block ×5, first 2 shown]
	global_store_b64 v[4:5], v[12:13], off
	global_store_b64 v[0:1], v[22:23], off
	;; [unrolled: 1-line block ×4, first 2 shown]
.LBB0_2:
	s_nop 0
	s_sendmsg sendmsg(MSG_DEALLOC_VGPRS)
	s_endpgm
	.section	.rodata,"a",@progbits
	.p2align	6, 0x0
	.amdhsa_kernel bluestein_single_fwd_len2700_dim1_sp_op_CI_CI
		.amdhsa_group_segment_fixed_size 21600
		.amdhsa_private_segment_fixed_size 492
		.amdhsa_kernarg_size 104
		.amdhsa_user_sgpr_count 2
		.amdhsa_user_sgpr_dispatch_ptr 0
		.amdhsa_user_sgpr_queue_ptr 0
		.amdhsa_user_sgpr_kernarg_segment_ptr 1
		.amdhsa_user_sgpr_dispatch_id 0
		.amdhsa_user_sgpr_private_segment_size 0
		.amdhsa_wavefront_size32 1
		.amdhsa_uses_dynamic_stack 0
		.amdhsa_enable_private_segment 1
		.amdhsa_system_sgpr_workgroup_id_x 1
		.amdhsa_system_sgpr_workgroup_id_y 0
		.amdhsa_system_sgpr_workgroup_id_z 0
		.amdhsa_system_sgpr_workgroup_info 0
		.amdhsa_system_vgpr_workitem_id 0
		.amdhsa_next_free_vgpr 256
		.amdhsa_next_free_sgpr 20
		.amdhsa_reserve_vcc 1
		.amdhsa_float_round_mode_32 0
		.amdhsa_float_round_mode_16_64 0
		.amdhsa_float_denorm_mode_32 3
		.amdhsa_float_denorm_mode_16_64 3
		.amdhsa_fp16_overflow 0
		.amdhsa_workgroup_processor_mode 1
		.amdhsa_memory_ordered 1
		.amdhsa_forward_progress 0
		.amdhsa_round_robin_scheduling 0
		.amdhsa_exception_fp_ieee_invalid_op 0
		.amdhsa_exception_fp_denorm_src 0
		.amdhsa_exception_fp_ieee_div_zero 0
		.amdhsa_exception_fp_ieee_overflow 0
		.amdhsa_exception_fp_ieee_underflow 0
		.amdhsa_exception_fp_ieee_inexact 0
		.amdhsa_exception_int_div_zero 0
	.end_amdhsa_kernel
	.text
.Lfunc_end0:
	.size	bluestein_single_fwd_len2700_dim1_sp_op_CI_CI, .Lfunc_end0-bluestein_single_fwd_len2700_dim1_sp_op_CI_CI
                                        ; -- End function
	.section	.AMDGPU.csdata,"",@progbits
; Kernel info:
; codeLenInByte = 35984
; NumSgprs: 22
; NumVgprs: 256
; ScratchSize: 492
; MemoryBound: 0
; FloatMode: 240
; IeeeMode: 1
; LDSByteSize: 21600 bytes/workgroup (compile time only)
; SGPRBlocks: 2
; VGPRBlocks: 31
; NumSGPRsForWavesPerEU: 22
; NumVGPRsForWavesPerEU: 256
; Occupancy: 5
; WaveLimiterHint : 1
; COMPUTE_PGM_RSRC2:SCRATCH_EN: 1
; COMPUTE_PGM_RSRC2:USER_SGPR: 2
; COMPUTE_PGM_RSRC2:TRAP_HANDLER: 0
; COMPUTE_PGM_RSRC2:TGID_X_EN: 1
; COMPUTE_PGM_RSRC2:TGID_Y_EN: 0
; COMPUTE_PGM_RSRC2:TGID_Z_EN: 0
; COMPUTE_PGM_RSRC2:TIDIG_COMP_CNT: 0
	.text
	.p2alignl 7, 3214868480
	.fill 96, 4, 3214868480
	.type	__hip_cuid_f4cce1450e5b923d,@object ; @__hip_cuid_f4cce1450e5b923d
	.section	.bss,"aw",@nobits
	.globl	__hip_cuid_f4cce1450e5b923d
__hip_cuid_f4cce1450e5b923d:
	.byte	0                               ; 0x0
	.size	__hip_cuid_f4cce1450e5b923d, 1

	.ident	"AMD clang version 19.0.0git (https://github.com/RadeonOpenCompute/llvm-project roc-6.4.0 25133 c7fe45cf4b819c5991fe208aaa96edf142730f1d)"
	.section	".note.GNU-stack","",@progbits
	.addrsig
	.addrsig_sym __hip_cuid_f4cce1450e5b923d
	.amdgpu_metadata
---
amdhsa.kernels:
  - .args:
      - .actual_access:  read_only
        .address_space:  global
        .offset:         0
        .size:           8
        .value_kind:     global_buffer
      - .actual_access:  read_only
        .address_space:  global
        .offset:         8
        .size:           8
        .value_kind:     global_buffer
      - .actual_access:  read_only
        .address_space:  global
        .offset:         16
        .size:           8
        .value_kind:     global_buffer
      - .actual_access:  read_only
        .address_space:  global
        .offset:         24
        .size:           8
        .value_kind:     global_buffer
      - .actual_access:  read_only
        .address_space:  global
        .offset:         32
        .size:           8
        .value_kind:     global_buffer
      - .offset:         40
        .size:           8
        .value_kind:     by_value
      - .address_space:  global
        .offset:         48
        .size:           8
        .value_kind:     global_buffer
      - .address_space:  global
        .offset:         56
        .size:           8
        .value_kind:     global_buffer
      - .address_space:  global
        .offset:         64
        .size:           8
        .value_kind:     global_buffer
      - .address_space:  global
        .offset:         72
        .size:           8
        .value_kind:     global_buffer
      - .offset:         80
        .size:           4
        .value_kind:     by_value
      - .address_space:  global
        .offset:         88
        .size:           8
        .value_kind:     global_buffer
      - .address_space:  global
        .offset:         96
        .size:           8
        .value_kind:     global_buffer
    .group_segment_fixed_size: 21600
    .kernarg_segment_align: 8
    .kernarg_segment_size: 104
    .language:       OpenCL C
    .language_version:
      - 2
      - 0
    .max_flat_workgroup_size: 90
    .name:           bluestein_single_fwd_len2700_dim1_sp_op_CI_CI
    .private_segment_fixed_size: 492
    .sgpr_count:     22
    .sgpr_spill_count: 0
    .symbol:         bluestein_single_fwd_len2700_dim1_sp_op_CI_CI.kd
    .uniform_work_group_size: 1
    .uses_dynamic_stack: false
    .vgpr_count:     256
    .vgpr_spill_count: 122
    .wavefront_size: 32
    .workgroup_processor_mode: 1
amdhsa.target:   amdgcn-amd-amdhsa--gfx1201
amdhsa.version:
  - 1
  - 2
...

	.end_amdgpu_metadata
